;; amdgpu-corpus repo=ROCm/rocFFT kind=compiled arch=gfx1201 opt=O3
	.text
	.amdgcn_target "amdgcn-amd-amdhsa--gfx1201"
	.amdhsa_code_object_version 6
	.protected	fft_rtc_back_len2430_factors_10_3_3_3_3_3_wgs_81_tpt_81_halfLds_sp_op_CI_CI_unitstride_sbrr_R2C_dirReg ; -- Begin function fft_rtc_back_len2430_factors_10_3_3_3_3_3_wgs_81_tpt_81_halfLds_sp_op_CI_CI_unitstride_sbrr_R2C_dirReg
	.globl	fft_rtc_back_len2430_factors_10_3_3_3_3_3_wgs_81_tpt_81_halfLds_sp_op_CI_CI_unitstride_sbrr_R2C_dirReg
	.p2align	8
	.type	fft_rtc_back_len2430_factors_10_3_3_3_3_3_wgs_81_tpt_81_halfLds_sp_op_CI_CI_unitstride_sbrr_R2C_dirReg,@function
fft_rtc_back_len2430_factors_10_3_3_3_3_3_wgs_81_tpt_81_halfLds_sp_op_CI_CI_unitstride_sbrr_R2C_dirReg: ; @fft_rtc_back_len2430_factors_10_3_3_3_3_3_wgs_81_tpt_81_halfLds_sp_op_CI_CI_unitstride_sbrr_R2C_dirReg
; %bb.0:
	s_clause 0x2
	s_load_b128 s[8:11], s[0:1], 0x0
	s_load_b128 s[4:7], s[0:1], 0x58
	;; [unrolled: 1-line block ×3, first 2 shown]
	v_mul_u32_u24_e32 v1, 0x32a, v0
	v_mov_b32_e32 v3, 0
	s_delay_alu instid0(VALU_DEP_2) | instskip(NEXT) | instid1(VALU_DEP_1)
	v_lshrrev_b32_e32 v1, 16, v1
	v_add_nc_u32_e32 v5, ttmp9, v1
	v_mov_b32_e32 v1, 0
	v_mov_b32_e32 v2, 0
	;; [unrolled: 1-line block ×3, first 2 shown]
	s_wait_kmcnt 0x0
	v_cmp_lt_u64_e64 s2, s[10:11], 2
	s_delay_alu instid0(VALU_DEP_1)
	s_and_b32 vcc_lo, exec_lo, s2
	s_cbranch_vccnz .LBB0_8
; %bb.1:
	s_load_b64 s[2:3], s[0:1], 0x10
	v_mov_b32_e32 v1, 0
	v_mov_b32_e32 v2, 0
	s_add_nc_u64 s[16:17], s[14:15], 8
	s_add_nc_u64 s[18:19], s[12:13], 8
	s_mov_b64 s[20:21], 1
	s_delay_alu instid0(VALU_DEP_1)
	v_dual_mov_b32 v27, v2 :: v_dual_mov_b32 v26, v1
	s_wait_kmcnt 0x0
	s_add_nc_u64 s[22:23], s[2:3], 8
	s_mov_b32 s3, 0
.LBB0_2:                                ; =>This Inner Loop Header: Depth=1
	s_load_b64 s[24:25], s[22:23], 0x0
                                        ; implicit-def: $vgpr30_vgpr31
	s_mov_b32 s2, exec_lo
	s_wait_kmcnt 0x0
	v_or_b32_e32 v4, s25, v6
	s_delay_alu instid0(VALU_DEP_1)
	v_cmpx_ne_u64_e32 0, v[3:4]
	s_wait_alu 0xfffe
	s_xor_b32 s26, exec_lo, s2
	s_cbranch_execz .LBB0_4
; %bb.3:                                ;   in Loop: Header=BB0_2 Depth=1
	s_cvt_f32_u32 s2, s24
	s_cvt_f32_u32 s27, s25
	s_sub_nc_u64 s[30:31], 0, s[24:25]
	s_wait_alu 0xfffe
	s_delay_alu instid0(SALU_CYCLE_1) | instskip(SKIP_1) | instid1(SALU_CYCLE_2)
	s_fmamk_f32 s2, s27, 0x4f800000, s2
	s_wait_alu 0xfffe
	v_s_rcp_f32 s2, s2
	s_delay_alu instid0(TRANS32_DEP_1) | instskip(SKIP_1) | instid1(SALU_CYCLE_2)
	s_mul_f32 s2, s2, 0x5f7ffffc
	s_wait_alu 0xfffe
	s_mul_f32 s27, s2, 0x2f800000
	s_wait_alu 0xfffe
	s_delay_alu instid0(SALU_CYCLE_2) | instskip(SKIP_1) | instid1(SALU_CYCLE_2)
	s_trunc_f32 s27, s27
	s_wait_alu 0xfffe
	s_fmamk_f32 s2, s27, 0xcf800000, s2
	s_cvt_u32_f32 s29, s27
	s_wait_alu 0xfffe
	s_delay_alu instid0(SALU_CYCLE_1) | instskip(SKIP_1) | instid1(SALU_CYCLE_2)
	s_cvt_u32_f32 s28, s2
	s_wait_alu 0xfffe
	s_mul_u64 s[34:35], s[30:31], s[28:29]
	s_wait_alu 0xfffe
	s_mul_hi_u32 s37, s28, s35
	s_mul_i32 s36, s28, s35
	s_mul_hi_u32 s2, s28, s34
	s_mul_i32 s33, s29, s34
	s_wait_alu 0xfffe
	s_add_nc_u64 s[36:37], s[2:3], s[36:37]
	s_mul_hi_u32 s27, s29, s34
	s_mul_hi_u32 s38, s29, s35
	s_add_co_u32 s2, s36, s33
	s_wait_alu 0xfffe
	s_add_co_ci_u32 s2, s37, s27
	s_mul_i32 s34, s29, s35
	s_add_co_ci_u32 s35, s38, 0
	s_wait_alu 0xfffe
	s_add_nc_u64 s[34:35], s[2:3], s[34:35]
	s_wait_alu 0xfffe
	v_add_co_u32 v4, s2, s28, s34
	s_delay_alu instid0(VALU_DEP_1) | instskip(SKIP_1) | instid1(VALU_DEP_1)
	s_cmp_lg_u32 s2, 0
	s_add_co_ci_u32 s29, s29, s35
	v_readfirstlane_b32 s28, v4
	s_wait_alu 0xfffe
	s_delay_alu instid0(VALU_DEP_1)
	s_mul_u64 s[30:31], s[30:31], s[28:29]
	s_wait_alu 0xfffe
	s_mul_hi_u32 s35, s28, s31
	s_mul_i32 s34, s28, s31
	s_mul_hi_u32 s2, s28, s30
	s_mul_i32 s33, s29, s30
	s_wait_alu 0xfffe
	s_add_nc_u64 s[34:35], s[2:3], s[34:35]
	s_mul_hi_u32 s27, s29, s30
	s_mul_hi_u32 s28, s29, s31
	s_wait_alu 0xfffe
	s_add_co_u32 s2, s34, s33
	s_add_co_ci_u32 s2, s35, s27
	s_mul_i32 s30, s29, s31
	s_add_co_ci_u32 s31, s28, 0
	s_wait_alu 0xfffe
	s_add_nc_u64 s[30:31], s[2:3], s[30:31]
	s_wait_alu 0xfffe
	v_add_co_u32 v4, s2, v4, s30
	s_delay_alu instid0(VALU_DEP_1) | instskip(SKIP_1) | instid1(VALU_DEP_1)
	s_cmp_lg_u32 s2, 0
	s_add_co_ci_u32 s2, s29, s31
	v_mul_hi_u32 v13, v5, v4
	s_wait_alu 0xfffe
	v_mad_co_u64_u32 v[7:8], null, v5, s2, 0
	v_mad_co_u64_u32 v[9:10], null, v6, v4, 0
	;; [unrolled: 1-line block ×3, first 2 shown]
	s_delay_alu instid0(VALU_DEP_3) | instskip(SKIP_1) | instid1(VALU_DEP_4)
	v_add_co_u32 v4, vcc_lo, v13, v7
	s_wait_alu 0xfffd
	v_add_co_ci_u32_e32 v7, vcc_lo, 0, v8, vcc_lo
	s_delay_alu instid0(VALU_DEP_2) | instskip(SKIP_1) | instid1(VALU_DEP_2)
	v_add_co_u32 v4, vcc_lo, v4, v9
	s_wait_alu 0xfffd
	v_add_co_ci_u32_e32 v4, vcc_lo, v7, v10, vcc_lo
	s_wait_alu 0xfffd
	v_add_co_ci_u32_e32 v7, vcc_lo, 0, v12, vcc_lo
	s_delay_alu instid0(VALU_DEP_2) | instskip(SKIP_1) | instid1(VALU_DEP_2)
	v_add_co_u32 v4, vcc_lo, v4, v11
	s_wait_alu 0xfffd
	v_add_co_ci_u32_e32 v9, vcc_lo, 0, v7, vcc_lo
	s_delay_alu instid0(VALU_DEP_2) | instskip(SKIP_1) | instid1(VALU_DEP_3)
	v_mul_lo_u32 v10, s25, v4
	v_mad_co_u64_u32 v[7:8], null, s24, v4, 0
	v_mul_lo_u32 v11, s24, v9
	s_delay_alu instid0(VALU_DEP_2) | instskip(NEXT) | instid1(VALU_DEP_2)
	v_sub_co_u32 v7, vcc_lo, v5, v7
	v_add3_u32 v8, v8, v11, v10
	s_delay_alu instid0(VALU_DEP_1) | instskip(SKIP_1) | instid1(VALU_DEP_1)
	v_sub_nc_u32_e32 v10, v6, v8
	s_wait_alu 0xfffd
	v_subrev_co_ci_u32_e64 v10, s2, s25, v10, vcc_lo
	v_add_co_u32 v11, s2, v4, 2
	s_wait_alu 0xf1ff
	v_add_co_ci_u32_e64 v12, s2, 0, v9, s2
	v_sub_co_u32 v13, s2, v7, s24
	v_sub_co_ci_u32_e32 v8, vcc_lo, v6, v8, vcc_lo
	s_wait_alu 0xf1ff
	v_subrev_co_ci_u32_e64 v10, s2, 0, v10, s2
	s_delay_alu instid0(VALU_DEP_3) | instskip(NEXT) | instid1(VALU_DEP_3)
	v_cmp_le_u32_e32 vcc_lo, s24, v13
	v_cmp_eq_u32_e64 s2, s25, v8
	s_wait_alu 0xfffd
	v_cndmask_b32_e64 v13, 0, -1, vcc_lo
	v_cmp_le_u32_e32 vcc_lo, s25, v10
	s_wait_alu 0xfffd
	v_cndmask_b32_e64 v14, 0, -1, vcc_lo
	v_cmp_le_u32_e32 vcc_lo, s24, v7
	;; [unrolled: 3-line block ×3, first 2 shown]
	s_wait_alu 0xfffd
	v_cndmask_b32_e64 v15, 0, -1, vcc_lo
	v_cmp_eq_u32_e32 vcc_lo, s25, v10
	s_wait_alu 0xf1ff
	s_delay_alu instid0(VALU_DEP_2)
	v_cndmask_b32_e64 v7, v15, v7, s2
	s_wait_alu 0xfffd
	v_cndmask_b32_e32 v10, v14, v13, vcc_lo
	v_add_co_u32 v13, vcc_lo, v4, 1
	s_wait_alu 0xfffd
	v_add_co_ci_u32_e32 v14, vcc_lo, 0, v9, vcc_lo
	s_delay_alu instid0(VALU_DEP_3) | instskip(SKIP_1) | instid1(VALU_DEP_2)
	v_cmp_ne_u32_e32 vcc_lo, 0, v10
	s_wait_alu 0xfffd
	v_cndmask_b32_e32 v8, v14, v12, vcc_lo
	v_cndmask_b32_e32 v10, v13, v11, vcc_lo
	v_cmp_ne_u32_e32 vcc_lo, 0, v7
	s_wait_alu 0xfffd
	s_delay_alu instid0(VALU_DEP_2)
	v_dual_cndmask_b32 v31, v9, v8 :: v_dual_cndmask_b32 v30, v4, v10
.LBB0_4:                                ;   in Loop: Header=BB0_2 Depth=1
	s_wait_alu 0xfffe
	s_and_not1_saveexec_b32 s2, s26
	s_cbranch_execz .LBB0_6
; %bb.5:                                ;   in Loop: Header=BB0_2 Depth=1
	v_cvt_f32_u32_e32 v4, s24
	s_sub_co_i32 s26, 0, s24
	v_mov_b32_e32 v31, v3
	s_delay_alu instid0(VALU_DEP_2) | instskip(NEXT) | instid1(TRANS32_DEP_1)
	v_rcp_iflag_f32_e32 v4, v4
	v_mul_f32_e32 v4, 0x4f7ffffe, v4
	s_delay_alu instid0(VALU_DEP_1) | instskip(SKIP_1) | instid1(VALU_DEP_1)
	v_cvt_u32_f32_e32 v4, v4
	s_wait_alu 0xfffe
	v_mul_lo_u32 v7, s26, v4
	s_delay_alu instid0(VALU_DEP_1) | instskip(NEXT) | instid1(VALU_DEP_1)
	v_mul_hi_u32 v7, v4, v7
	v_add_nc_u32_e32 v4, v4, v7
	s_delay_alu instid0(VALU_DEP_1) | instskip(NEXT) | instid1(VALU_DEP_1)
	v_mul_hi_u32 v4, v5, v4
	v_mul_lo_u32 v7, v4, s24
	v_add_nc_u32_e32 v8, 1, v4
	s_delay_alu instid0(VALU_DEP_2) | instskip(NEXT) | instid1(VALU_DEP_1)
	v_sub_nc_u32_e32 v7, v5, v7
	v_subrev_nc_u32_e32 v9, s24, v7
	v_cmp_le_u32_e32 vcc_lo, s24, v7
	s_wait_alu 0xfffd
	s_delay_alu instid0(VALU_DEP_2) | instskip(NEXT) | instid1(VALU_DEP_1)
	v_dual_cndmask_b32 v7, v7, v9 :: v_dual_cndmask_b32 v4, v4, v8
	v_cmp_le_u32_e32 vcc_lo, s24, v7
	s_delay_alu instid0(VALU_DEP_2) | instskip(SKIP_1) | instid1(VALU_DEP_1)
	v_add_nc_u32_e32 v8, 1, v4
	s_wait_alu 0xfffd
	v_cndmask_b32_e32 v30, v4, v8, vcc_lo
.LBB0_6:                                ;   in Loop: Header=BB0_2 Depth=1
	s_wait_alu 0xfffe
	s_or_b32 exec_lo, exec_lo, s2
	v_mul_lo_u32 v4, v31, s24
	s_delay_alu instid0(VALU_DEP_2)
	v_mul_lo_u32 v9, v30, s25
	s_load_b64 s[26:27], s[18:19], 0x0
	v_mad_co_u64_u32 v[7:8], null, v30, s24, 0
	s_load_b64 s[24:25], s[16:17], 0x0
	s_add_nc_u64 s[20:21], s[20:21], 1
	s_add_nc_u64 s[16:17], s[16:17], 8
	s_wait_alu 0xfffe
	v_cmp_ge_u64_e64 s2, s[20:21], s[10:11]
	s_add_nc_u64 s[18:19], s[18:19], 8
	s_add_nc_u64 s[22:23], s[22:23], 8
	v_add3_u32 v4, v8, v9, v4
	v_sub_co_u32 v5, vcc_lo, v5, v7
	s_wait_alu 0xfffd
	s_delay_alu instid0(VALU_DEP_2) | instskip(SKIP_2) | instid1(VALU_DEP_1)
	v_sub_co_ci_u32_e32 v4, vcc_lo, v6, v4, vcc_lo
	s_and_b32 vcc_lo, exec_lo, s2
	s_wait_kmcnt 0x0
	v_mul_lo_u32 v6, s26, v4
	v_mul_lo_u32 v7, s27, v5
	v_mad_co_u64_u32 v[1:2], null, s26, v5, v[1:2]
	v_mul_lo_u32 v4, s24, v4
	v_mul_lo_u32 v8, s25, v5
	v_mad_co_u64_u32 v[26:27], null, s24, v5, v[26:27]
	s_delay_alu instid0(VALU_DEP_4) | instskip(NEXT) | instid1(VALU_DEP_2)
	v_add3_u32 v2, v7, v2, v6
	v_add3_u32 v27, v8, v27, v4
	s_wait_alu 0xfffe
	s_cbranch_vccnz .LBB0_9
; %bb.7:                                ;   in Loop: Header=BB0_2 Depth=1
	v_dual_mov_b32 v5, v30 :: v_dual_mov_b32 v6, v31
	s_branch .LBB0_2
.LBB0_8:
	v_dual_mov_b32 v27, v2 :: v_dual_mov_b32 v26, v1
	v_dual_mov_b32 v31, v6 :: v_dual_mov_b32 v30, v5
.LBB0_9:
	s_load_b64 s[0:1], s[0:1], 0x28
	v_mul_hi_u32 v3, 0x3291620, v0
	s_lshl_b64 s[10:11], s[10:11], 3
                                        ; implicit-def: $vgpr24
                                        ; implicit-def: $vgpr28
                                        ; implicit-def: $vgpr39
                                        ; implicit-def: $vgpr38
                                        ; implicit-def: $vgpr37
                                        ; implicit-def: $vgpr36
                                        ; implicit-def: $vgpr35
                                        ; implicit-def: $vgpr34
                                        ; implicit-def: $vgpr33
                                        ; implicit-def: $vgpr32
	s_wait_kmcnt 0x0
	v_cmp_gt_u64_e32 vcc_lo, s[0:1], v[30:31]
	v_cmp_le_u64_e64 s0, s[0:1], v[30:31]
	s_delay_alu instid0(VALU_DEP_1)
	s_and_saveexec_b32 s1, s0
	s_wait_alu 0xfffe
	s_xor_b32 s0, exec_lo, s1
; %bb.10:
	v_mul_u32_u24_e32 v1, 0x51, v3
                                        ; implicit-def: $vgpr3
	s_delay_alu instid0(VALU_DEP_1) | instskip(NEXT) | instid1(VALU_DEP_1)
	v_sub_nc_u32_e32 v24, v0, v1
                                        ; implicit-def: $vgpr0
                                        ; implicit-def: $vgpr1_vgpr2
	v_add_nc_u32_e32 v28, 0x51, v24
	v_add_nc_u32_e32 v39, 0xa2, v24
	;; [unrolled: 1-line block ×9, first 2 shown]
; %bb.11:
	s_wait_alu 0xfffe
	s_or_saveexec_b32 s1, s0
	s_add_nc_u64 s[2:3], s[14:15], s[10:11]
	s_wait_alu 0xfffe
	s_xor_b32 exec_lo, exec_lo, s1
	s_cbranch_execz .LBB0_13
; %bb.12:
	s_add_nc_u64 s[10:11], s[12:13], s[10:11]
	v_lshlrev_b64_e32 v[1:2], 3, v[1:2]
	s_load_b64 s[10:11], s[10:11], 0x0
	s_wait_kmcnt 0x0
	v_mul_lo_u32 v6, s11, v30
	v_mul_lo_u32 v7, s10, v31
	v_mad_co_u64_u32 v[4:5], null, s10, v30, 0
	s_delay_alu instid0(VALU_DEP_1) | instskip(SKIP_1) | instid1(VALU_DEP_2)
	v_add3_u32 v5, v5, v7, v6
	v_mul_u32_u24_e32 v6, 0x51, v3
	v_lshlrev_b64_e32 v[3:4], 3, v[4:5]
	s_delay_alu instid0(VALU_DEP_2) | instskip(NEXT) | instid1(VALU_DEP_1)
	v_sub_nc_u32_e32 v24, v0, v6
	v_lshlrev_b32_e32 v25, 3, v24
	s_delay_alu instid0(VALU_DEP_3) | instskip(SKIP_1) | instid1(VALU_DEP_4)
	v_add_co_u32 v0, s0, s4, v3
	s_wait_alu 0xf1ff
	v_add_co_ci_u32_e64 v3, s0, s5, v4, s0
	v_add_nc_u32_e32 v28, 0x51, v24
	s_delay_alu instid0(VALU_DEP_3) | instskip(SKIP_1) | instid1(VALU_DEP_3)
	v_add_co_u32 v0, s0, v0, v1
	s_wait_alu 0xf1ff
	v_add_co_ci_u32_e64 v1, s0, v3, v2, s0
	v_add_nc_u32_e32 v39, 0xa2, v24
	s_delay_alu instid0(VALU_DEP_3) | instskip(SKIP_1) | instid1(VALU_DEP_3)
	v_add_co_u32 v0, s0, v0, v25
	s_wait_alu 0xf1ff
	v_add_co_ci_u32_e64 v1, s0, 0, v1, s0
	s_clause 0x1d
	global_load_b64 v[2:3], v[0:1], off
	global_load_b64 v[4:5], v[0:1], off offset:648
	global_load_b64 v[6:7], v[0:1], off offset:1296
	;; [unrolled: 1-line block ×29, first 2 shown]
	v_add_nc_u32_e32 v25, 0, v25
	v_add_nc_u32_e32 v38, 0xf3, v24
	;; [unrolled: 1-line block ×21, first 2 shown]
	s_wait_loadcnt 0x1c
	ds_store_2addr_b64 v25, v[2:3], v[4:5] offset1:81
	s_wait_loadcnt 0x1a
	ds_store_2addr_b64 v25, v[6:7], v[8:9] offset0:162 offset1:243
	s_wait_loadcnt 0x18
	ds_store_2addr_b64 v29, v[10:11], v[12:13] offset0:68 offset1:149
	;; [unrolled: 2-line block ×14, first 2 shown]
.LBB0_13:
	s_or_b32 exec_lo, exec_lo, s1
	v_lshlrev_b32_e32 v25, 3, v24
	s_load_b64 s[2:3], s[2:3], 0x0
	global_wb scope:SCOPE_SE
	s_wait_dscnt 0x0
	s_wait_kmcnt 0x0
	s_barrier_signal -1
	s_barrier_wait -1
	v_add_nc_u32_e32 v41, 0, v25
	global_inv scope:SCOPE_SE
	v_cmp_gt_u32_e64 s0, 9, v24
	s_mov_b32 s1, exec_lo
	v_add_nc_u32_e32 v0, 0xc00, v41
	v_add_nc_u32_e32 v42, 0x1c00, v41
	;; [unrolled: 1-line block ×4, first 2 shown]
	ds_load_2addr_b64 v[4:7], v41 offset1:81
	ds_load_2addr_b64 v[58:61], v0 offset0:102 offset1:183
	ds_load_2addr_b64 v[72:75], v42 offset0:76 offset1:157
	ds_load_2addr_b64 v[80:83], v29 offset0:50 offset1:131
	ds_load_2addr_b64 v[20:23], v40 offset0:152 offset1:233
	s_wait_dscnt 0x3
	v_dual_add_f32 v51, v4, v58 :: v_dual_add_f32 v52, v5, v59
	v_add_f32_e32 v55, v6, v60
	s_wait_dscnt 0x1
	v_add_f32_e32 v66, v72, v80
	v_dual_sub_f32 v49, v72, v58 :: v_dual_add_nc_u32 v8, 0x1000, v41
	s_wait_dscnt 0x0
	v_dual_sub_f32 v50, v80, v20 :: v_dual_add_nc_u32 v43, 0x2000, v41
	v_dual_sub_f32 v47, v72, v80 :: v_dual_add_nc_u32 v44, 0x3000, v41
	ds_load_2addr_b64 v[0:3], v41 offset0:162 offset1:243
	ds_load_2addr_b64 v[12:15], v8 offset0:136 offset1:217
	;; [unrolled: 1-line block ×4, first 2 shown]
	v_dual_add_f32 v69, v73, v81 :: v_dual_add_f32 v54, v51, v72
	v_sub_f32_e32 v71, v21, v81
	v_dual_sub_f32 v45, v73, v81 :: v_dual_sub_f32 v48, v58, v20
	v_sub_f32_e32 v68, v20, v80
	s_delay_alu instid0(VALU_DEP_4) | instskip(SKIP_2) | instid1(VALU_DEP_3)
	v_add_f32_e32 v54, v54, v80
	v_dual_add_f32 v53, v58, v20 :: v_dual_add_f32 v56, v59, v21
	v_dual_add_f32 v52, v52, v73 :: v_dual_add_f32 v55, v55, v74
	v_dual_sub_f32 v65, v81, v21 :: v_dual_add_f32 v64, v54, v20
	v_add_f32_e32 v20, v7, v61
	v_sub_f32_e32 v46, v59, v21
	v_dual_sub_f32 v70, v59, v73 :: v_dual_sub_f32 v51, v73, v59
	s_wait_dscnt 0x2
	v_dual_add_f32 v57, v2, v14 :: v_dual_add_f32 v52, v52, v81
	s_wait_dscnt 0x0
	v_add_f32_e32 v85, v18, v10
	v_sub_f32_e32 v67, v58, v72
	v_dual_add_f32 v72, v74, v82 :: v_dual_sub_f32 v79, v75, v61
	v_add_f32_e32 v86, v57, v18
	v_sub_f32_e32 v57, v60, v74
	v_dual_sub_f32 v59, v74, v60 :: v_dual_add_f32 v20, v20, v75
	v_dual_add_f32 v62, v52, v21 :: v_dual_add_f32 v73, v55, v82
	v_dual_sub_f32 v52, v74, v82 :: v_dual_add_f32 v81, v61, v23
	s_delay_alu instid0(VALU_DEP_3)
	v_dual_sub_f32 v63, v82, v22 :: v_dual_add_f32 v74, v20, v83
	v_dual_add_f32 v119, v19, v11 :: v_dual_add_nc_u32 v20, 0x4000, v41
	v_sub_f32_e32 v21, v75, v83
	v_add_f32_e32 v76, v75, v83
	v_dual_sub_f32 v58, v61, v75 :: v_dual_sub_f32 v55, v60, v22
	ds_load_2addr_b64 v[88:91], v20 offset0:58 offset1:139
	v_dual_sub_f32 v54, v61, v23 :: v_dual_sub_f32 v61, v22, v82
	v_dual_add_f32 v75, v60, v22 :: v_dual_sub_f32 v60, v23, v83
	v_dual_sub_f32 v117, v14, v18 :: v_dual_sub_f32 v80, v83, v23
	v_dual_add_f32 v77, v73, v22 :: v_dual_sub_f32 v84, v19, v11
	v_add_f32_e32 v78, v74, v23
	v_dual_add_f32 v22, v0, v12 :: v_dual_sub_f32 v87, v18, v10
	v_dual_add_f32 v82, v3, v15 :: v_dual_add_f32 v23, v1, v13
	v_dual_sub_f32 v118, v18, v14 :: v_dual_sub_f32 v121, v19, v15
	s_delay_alu instid0(VALU_DEP_3) | instskip(NEXT) | instid1(VALU_DEP_3)
	v_add_f32_e32 v83, v22, v16
	v_dual_add_f32 v82, v82, v19 :: v_dual_sub_f32 v73, v12, v16
	s_delay_alu instid0(VALU_DEP_4)
	v_add_f32_e32 v93, v23, v17
	v_dual_sub_f32 v120, v15, v19 :: v_dual_sub_f32 v23, v16, v12
	v_dual_add_f32 v122, v16, v8 :: v_dual_add_f32 v123, v17, v9
	v_dual_sub_f32 v18, v16, v8 :: v_dual_sub_f32 v19, v13, v17
	s_wait_dscnt 0x0
	v_dual_sub_f32 v131, v91, v11 :: v_dual_add_nc_u32 v16, 0x800, v41
	v_sub_f32_e32 v92, v15, v91
	v_dual_add_f32 v126, v15, v91 :: v_dual_add_nc_u32 v15, 0x1800, v41
	v_dual_sub_f32 v124, v17, v13 :: v_dual_add_f32 v127, v12, v88
	v_dual_sub_f32 v74, v12, v88 :: v_dual_add_f32 v93, v93, v9
	ds_load_2addr_b64 v[97:100], v16 offset0:68 offset1:149
	ds_load_2addr_b64 v[101:104], v15 offset0:42 offset1:123
	v_add_f32_e32 v16, v86, v10
	v_dual_add_f32 v86, v82, v11 :: v_dual_sub_f32 v133, v9, v89
	v_add_nc_u32_e32 v12, 0x2800, v41
	v_dual_sub_f32 v22, v17, v9 :: v_dual_add_f32 v125, v14, v90
	v_add_nc_u32_e32 v17, 0x3400, v41
	s_delay_alu instid0(VALU_DEP_4)
	v_add_f32_e32 v135, v86, v91
	ds_load_2addr_b64 v[105:108], v12 offset0:16 offset1:97
	v_dual_sub_f32 v94, v14, v90 :: v_dual_add_f32 v95, v83, v8
	ds_load_2addr_b64 v[109:112], v17 offset0:118 offset1:199
	v_dual_sub_f32 v14, v13, v89 :: v_dual_sub_f32 v129, v90, v10
	v_dual_add_f32 v128, v13, v89 :: v_dual_sub_f32 v83, v88, v8
	v_dual_sub_f32 v13, v89, v9 :: v_dual_sub_f32 v130, v10, v90
	s_wait_dscnt 0x2
	v_dual_sub_f32 v132, v11, v91 :: v_dual_add_f32 v9, v98, v102
	v_dual_add_f32 v86, v99, v103 :: v_dual_add_f32 v11, v93, v89
	v_sub_f32_e32 v82, v8, v88
	v_add_f32_e32 v10, v95, v88
	v_add_f32_e32 v8, v97, v101
	;; [unrolled: 1-line block ×3, first 2 shown]
	v_fma_f32 v85, -0.5, v85, v2
	v_fma_f32 v119, -0.5, v119, v3
	s_wait_dscnt 0x1
	v_dual_sub_f32 v139, v105, v101 :: v_dual_add_f32 v134, v16, v90
	v_dual_add_f32 v95, v86, v107 :: v_dual_add_nc_u32 v16, 0x4400, v41
	s_wait_dscnt 0x0
	v_sub_f32_e32 v89, v108, v112
	v_dual_add_f32 v9, v9, v106 :: v_dual_add_f32 v144, v108, v112
	v_dual_add_f32 v136, v105, v109 :: v_dual_sub_f32 v91, v104, v108
	ds_load_2addr_b64 v[113:116], v16 offset0:92 offset1:173
	v_add_f32_e32 v9, v9, v110
	v_dual_sub_f32 v137, v106, v110 :: v_dual_sub_f32 v138, v101, v105
	v_add_f32_e32 v140, v106, v110
	v_dual_sub_f32 v141, v102, v106 :: v_dual_add_f32 v8, v8, v105
	v_sub_f32_e32 v93, v103, v107
	v_dual_sub_f32 v105, v105, v109 :: v_dual_add_f32 v96, v88, v108
	v_dual_sub_f32 v143, v107, v103 :: v_dual_sub_f32 v106, v106, v102
	v_add_f32_e32 v142, v107, v111
	s_delay_alu instid0(VALU_DEP_3)
	v_dual_sub_f32 v86, v107, v111 :: v_dual_add_f32 v147, v96, v112
	v_sub_f32_e32 v107, v108, v104
	v_add_f32_e32 v124, v124, v133
	v_fma_f32 v152, -0.5, v72, v6
	v_fma_f32 v75, -0.5, v75, v6
	;; [unrolled: 1-line block ×3, first 2 shown]
	s_wait_dscnt 0x0
	v_sub_f32_e32 v108, v102, v114
	v_add_f32_e32 v102, v102, v114
	v_dual_sub_f32 v90, v104, v116 :: v_dual_sub_f32 v149, v114, v110
	v_sub_f32_e32 v148, v113, v109
	v_sub_f32_e32 v110, v110, v114
	v_dual_add_f32 v114, v9, v114 :: v_dual_fmamk_f32 v9, v92, 0xbf737871, v85
	v_add_f32_e32 v146, v103, v115
	v_add_f32_e32 v8, v8, v109
	v_dual_sub_f32 v96, v115, v111 :: v_dual_add_f32 v145, v101, v113
	s_delay_alu instid0(VALU_DEP_4)
	v_dual_fmac_f32 v9, 0xbf167918, v84 :: v_dual_sub_f32 v88, v103, v115
	v_dual_add_f32 v103, v104, v116 :: v_dual_add_f32 v104, v95, v111
	v_sub_f32_e32 v111, v111, v115
	v_sub_f32_e32 v101, v101, v113
	;; [unrolled: 1-line block ×4, first 2 shown]
	v_dual_add_f32 v104, v104, v115 :: v_dual_add_f32 v115, v117, v129
	v_add_f32_e32 v117, v120, v131
	v_fma_f32 v120, -0.5, v66, v4
	v_fma_f32 v129, -0.5, v69, v5
	v_add_f32_e32 v131, v67, v68
	v_dual_sub_f32 v112, v112, v116 :: v_dual_fmac_f32 v9, 0x3e9e377a, v115
	s_delay_alu instid0(VALU_DEP_4) | instskip(SKIP_3) | instid1(VALU_DEP_4)
	v_fmamk_f32 v69, v46, 0xbf737871, v120
	v_dual_add_f32 v113, v8, v113 :: v_dual_add_f32 v116, v147, v116
	v_fma_f32 v147, -0.5, v76, v7
	v_fmac_f32_e32 v7, -0.5, v81
	v_fmac_f32_e32 v69, 0xbf167918, v45
	v_dual_fmamk_f32 v150, v48, 0x3f737871, v129 :: v_dual_add_f32 v71, v70, v71
	v_mul_f32_e32 v151, 0x3f167918, v9
	v_add_f32_e32 v81, v106, v110
	s_delay_alu instid0(VALU_DEP_4) | instskip(SKIP_4) | instid1(VALU_DEP_4)
	v_fmac_f32_e32 v69, 0x3e9e377a, v131
	v_fmamk_f32 v8, v94, 0x3f737871, v119
	v_fma_f32 v102, -0.5, v102, v98
	v_add_f32_e32 v109, v139, v109
	v_fma_f32 v76, -0.5, v145, v97
	v_dual_add_f32 v79, v79, v80 :: v_dual_fmac_f32 v8, 0x3f167918, v87
	s_delay_alu instid0(VALU_DEP_4) | instskip(SKIP_1) | instid1(VALU_DEP_4)
	v_fmamk_f32 v145, v105, 0xbf737871, v102
	v_fmac_f32_e32 v102, 0x3f737871, v105
	v_dual_fmamk_f32 v106, v137, 0x3f737871, v76 :: v_dual_add_f32 v107, v107, v112
	s_delay_alu instid0(VALU_DEP_4)
	v_fmac_f32_e32 v8, 0x3e9e377a, v117
	v_fmac_f32_e32 v76, 0xbf737871, v137
	v_fma_f32 v139, -0.5, v144, v100
	v_fmac_f32_e32 v100, -0.5, v103
	v_fmamk_f32 v110, v52, 0xbf737871, v7
	v_mul_f32_e32 v70, 0xbf167918, v8
	v_fmac_f32_e32 v151, 0x3f4f1bbd, v8
	v_fmac_f32_e32 v7, 0x3f737871, v52
	;; [unrolled: 1-line block ×3, first 2 shown]
	v_dual_fmac_f32 v76, 0x3f167918, v108 :: v_dual_add_f32 v111, v143, v111
	v_dual_fmac_f32 v70, 0x3f4f1bbd, v9 :: v_dual_add_f32 v9, v62, v135
	v_fmac_f32_e32 v150, 0x3f167918, v47
	v_fmac_f32_e32 v7, 0xbf167918, v55
	;; [unrolled: 1-line block ×4, first 2 shown]
	v_fma_f32 v144, -0.5, v53, v4
	v_fmac_f32_e32 v150, 0x3e9e377a, v71
	v_fmac_f32_e32 v7, 0x3e9e377a, v79
	v_mul_f32_e32 v80, 0xbe9e377a, v102
	v_fma_f32 v112, -0.5, v146, v99
	v_fma_f32 v2, -0.5, v125, v2
	v_dual_add_f32 v68, v150, v151 :: v_dual_add_f32 v51, v51, v65
	s_delay_alu instid0(VALU_DEP_4) | instskip(SKIP_3) | instid1(VALU_DEP_4)
	v_fmac_f32_e32 v80, 0x3f737871, v76
	v_add_f32_e32 v8, v64, v134
	v_fma_f32 v133, -0.5, v142, v99
	v_fmamk_f32 v72, v87, 0xbf737871, v3
	v_dual_fmamk_f32 v99, v84, 0x3f737871, v2 :: v_dual_add_f32 v6, v7, v80
	v_sub_f32_e32 v4, v7, v80
	v_fma_f32 v7, -0.5, v123, v1
	v_fmac_f32_e32 v1, -0.5, v128
	v_fma_f32 v80, -0.5, v136, v97
	v_fma_f32 v97, -0.5, v140, v98
	v_add_f32_e32 v98, v121, v132
	v_dual_add_f32 v118, v118, v130 :: v_dual_fmamk_f32 v121, v45, 0x3f737871, v144
	v_fmamk_f32 v128, v18, 0xbf737871, v1
	v_fmac_f32_e32 v1, 0x3f737871, v18
	v_fmamk_f32 v103, v86, 0xbf737871, v100
	v_fmac_f32_e32 v100, 0x3f737871, v86
	v_fmac_f32_e32 v99, 0xbf167918, v92
	v_dual_fmac_f32 v85, 0x3f737871, v92 :: v_dual_fmac_f32 v120, 0x3f737871, v46
	v_fmac_f32_e32 v72, 0x3f167918, v94
	s_delay_alu instid0(VALU_DEP_4) | instskip(SKIP_3) | instid1(VALU_DEP_4)
	v_dual_fmac_f32 v100, 0xbf167918, v88 :: v_dual_fmac_f32 v1, 0xbf167918, v74
	v_fma_f32 v5, -0.5, v56, v5
	v_fmac_f32_e32 v99, 0x3e9e377a, v118
	v_fmac_f32_e32 v121, 0xbf167918, v46
	;; [unrolled: 1-line block ×5, first 2 shown]
	v_fmamk_f32 v123, v89, 0x3f737871, v112
	v_fmac_f32_e32 v112, 0xbf737871, v89
	v_dual_mul_f32 v136, 0xbf737871, v100 :: v_dual_fmac_f32 v119, 0xbf737871, v94
	v_fma_f32 v125, -0.5, v127, v0
	v_dual_fmamk_f32 v126, v47, 0xbf737871, v5 :: v_dual_mul_f32 v127, 0xbf737871, v72
	v_dual_fmac_f32 v144, 0xbf737871, v45 :: v_dual_fmac_f32 v129, 0xbf737871, v48
	v_fmac_f32_e32 v2, 0xbf737871, v84
	v_fmac_f32_e32 v120, 0x3f167918, v45
	s_delay_alu instid0(VALU_DEP_4) | instskip(SKIP_1) | instid1(VALU_DEP_4)
	v_fmac_f32_e32 v126, 0x3f167918, v48
	v_dual_fmac_f32 v127, 0x3e9e377a, v99 :: v_dual_mul_f32 v72, 0x3e9e377a, v72
	v_fmac_f32_e32 v2, 0x3f167918, v92
	v_fmac_f32_e32 v129, 0xbf167918, v47
	;; [unrolled: 1-line block ×4, first 2 shown]
	v_mul_f32_e32 v56, 0xbe9e377a, v100
	v_add_f32_e32 v100, v49, v50
	v_fmac_f32_e32 v126, 0x3e9e377a, v51
	v_dual_fmac_f32 v2, 0x3e9e377a, v118 :: v_dual_fmac_f32 v129, 0x3e9e377a, v71
	v_fmac_f32_e32 v72, 0x3f737871, v99
	v_fmac_f32_e32 v119, 0x3e9e377a, v117
	v_fmac_f32_e32 v112, 0x3f167918, v90
	v_fmac_f32_e32 v121, 0x3e9e377a, v100
	v_add_f32_e32 v67, v69, v70
	v_add_f32_e32 v65, v126, v72
	s_delay_alu instid0(VALU_DEP_4)
	v_dual_fmac_f32 v1, 0x3e9e377a, v124 :: v_dual_fmac_f32 v112, 0x3e9e377a, v111
	v_sub_f32_e32 v49, v69, v70
	v_fmac_f32_e32 v3, 0x3f737871, v87
	v_sub_f32_e32 v69, v121, v127
	v_sub_f32_e32 v50, v150, v151
	v_dual_fmac_f32 v56, 0x3f737871, v112 :: v_dual_fmac_f32 v5, 0x3f737871, v47
	s_delay_alu instid0(VALU_DEP_4) | instskip(SKIP_2) | instid1(VALU_DEP_4)
	v_fmac_f32_e32 v3, 0xbf167918, v94
	v_fma_f32 v122, -0.5, v122, v0
	v_fmac_f32_e32 v85, 0x3e9e377a, v115
	v_add_f32_e32 v53, v1, v56
	v_sub_f32_e32 v56, v1, v56
	v_fmac_f32_e32 v5, 0xbf167918, v48
	v_fmac_f32_e32 v3, 0x3e9e377a, v98
	v_sub_f32_e32 v0, v64, v134
	v_dual_mul_f32 v84, 0xbf4f1bbd, v119 :: v_dual_add_f32 v61, v57, v61
	s_delay_alu instid0(VALU_DEP_4) | instskip(NEXT) | instid1(VALU_DEP_4)
	v_fmac_f32_e32 v5, 0x3e9e377a, v51
	v_mul_f32_e32 v51, 0xbf737871, v3
	v_mul_f32_e32 v3, 0xbe9e377a, v3
	v_add_f32_e32 v64, v121, v127
	v_fmac_f32_e32 v84, 0x3f167918, v85
	v_fmac_f32_e32 v144, 0x3f167918, v46
	;; [unrolled: 1-line block ×3, first 2 shown]
	v_dual_fmac_f32 v3, 0x3f737871, v2 :: v_dual_sub_f32 v70, v126, v72
	v_mul_f32_e32 v2, 0xbf167918, v119
	v_sub_f32_e32 v1, v62, v135
	v_dual_fmac_f32 v145, 0x3f167918, v101 :: v_dual_fmac_f32 v110, 0x3f167918, v55
	s_delay_alu instid0(VALU_DEP_4) | instskip(NEXT) | instid1(VALU_DEP_4)
	v_sub_f32_e32 v48, v5, v3
	v_fmac_f32_e32 v2, 0xbf4f1bbd, v85
	v_dual_add_f32 v46, v5, v3 :: v_dual_mul_f32 v3, 0xbf737871, v102
	v_add_f32_e32 v94, v58, v60
	s_delay_alu instid0(VALU_DEP_3) | instskip(SKIP_1) | instid1(VALU_DEP_4)
	v_dual_fmac_f32 v106, 0xbf167918, v108 :: v_dual_add_f32 v71, v120, v2
	v_sub_f32_e32 v62, v120, v2
	v_dual_add_f32 v2, v59, v63 :: v_dual_fmac_f32 v3, 0xbe9e377a, v76
	v_sub_f32_e32 v63, v129, v84
	v_dual_fmac_f32 v144, 0x3e9e377a, v100 :: v_dual_fmac_f32 v145, 0x3e9e377a, v81
	v_fmac_f32_e32 v110, 0x3e9e377a, v79
	v_fmac_f32_e32 v106, 0x3e9e377a, v109
	v_dual_fmamk_f32 v59, v101, 0x3f737871, v97 :: v_dual_add_f32 v58, v78, v114
	s_delay_alu instid0(VALU_DEP_4)
	v_add_f32_e32 v45, v144, v51
	v_sub_f32_e32 v47, v144, v51
	v_fmamk_f32 v51, v21, 0x3f737871, v75
	v_fmac_f32_e32 v75, 0xbf737871, v21
	v_dual_add_f32 v85, v141, v149 :: v_dual_fmamk_f32 v76, v108, 0xbf737871, v80
	v_add_f32_e32 v57, v77, v113
	s_delay_alu instid0(VALU_DEP_4) | instskip(NEXT) | instid1(VALU_DEP_4)
	v_fmac_f32_e32 v51, 0xbf167918, v54
	v_dual_fmac_f32 v75, 0x3f167918, v54 :: v_dual_add_f32 v72, v129, v84
	v_add_f32_e32 v84, v138, v148
	v_sub_f32_e32 v60, v78, v114
	s_delay_alu instid0(VALU_DEP_4) | instskip(NEXT) | instid1(VALU_DEP_4)
	v_fmac_f32_e32 v51, 0x3e9e377a, v2
	v_fmac_f32_e32 v75, 0x3e9e377a, v2
	v_mul_f32_e32 v2, 0xbf737871, v145
	v_mul_f32_e32 v81, 0x3e9e377a, v145
	v_fmac_f32_e32 v80, 0x3f737871, v108
	v_dual_fmac_f32 v128, 0x3f167918, v74 :: v_dual_fmac_f32 v103, 0x3f167918, v88
	v_add_f32_e32 v13, v19, v13
	s_delay_alu instid0(VALU_DEP_4) | instskip(SKIP_4) | instid1(VALU_DEP_4)
	v_fmac_f32_e32 v81, 0x3f737871, v106
	v_fmamk_f32 v92, v55, 0x3f737871, v147
	v_fmac_f32_e32 v147, 0xbf737871, v55
	v_fmac_f32_e32 v2, 0x3e9e377a, v106
	;; [unrolled: 1-line block ×3, first 2 shown]
	v_dual_fmac_f32 v59, 0x3f167918, v105 :: v_dual_fmac_f32 v92, 0x3f167918, v52
	s_delay_alu instid0(VALU_DEP_4) | instskip(NEXT) | instid1(VALU_DEP_4)
	v_fmac_f32_e32 v147, 0xbf167918, v52
	v_dual_add_f32 v79, v51, v2 :: v_dual_fmac_f32 v80, 0x3f167918, v137
	s_delay_alu instid0(VALU_DEP_3) | instskip(SKIP_1) | instid1(VALU_DEP_4)
	v_fmac_f32_e32 v59, 0x3e9e377a, v85
	v_fmamk_f32 v19, v90, 0xbf737871, v133
	v_fmac_f32_e32 v147, 0x3e9e377a, v94
	v_fmac_f32_e32 v97, 0xbf167918, v105
	;; [unrolled: 1-line block ×7, first 2 shown]
	v_fmamk_f32 v87, v54, 0xbf737871, v152
	v_mul_f32_e32 v98, 0xbf167918, v59
	v_fmac_f32_e32 v152, 0x3f737871, v54
	v_fmac_f32_e32 v136, 0xbe9e377a, v112
	;; [unrolled: 1-line block ×7, first 2 shown]
	v_mul_f32_e32 v54, 0xbf737871, v103
	v_fmac_f32_e32 v87, 0x3e9e377a, v61
	v_fmac_f32_e32 v76, 0xbf167918, v137
	;; [unrolled: 1-line block ×3, first 2 shown]
	v_mul_u32_u24_e32 v66, 10, v24
	v_fmac_f32_e32 v54, 0x3e9e377a, v123
	v_fmac_f32_e32 v19, 0xbf167918, v89
	;; [unrolled: 1-line block ×3, first 2 shown]
	v_sub_f32_e32 v84, v51, v2
	v_fmamk_f32 v2, v14, 0xbf737871, v122
	v_dual_fmac_f32 v122, 0x3f737871, v14 :: v_dual_fmamk_f32 v51, v22, 0x3f737871, v125
	s_delay_alu instid0(VALU_DEP_4) | instskip(SKIP_1) | instid1(VALU_DEP_4)
	v_mul_f32_e32 v99, 0x3f167918, v76
	v_fmac_f32_e32 v125, 0xbf737871, v22
	v_dual_mul_f32 v21, 0xbf167918, v97 :: v_dual_fmac_f32 v2, 0xbf167918, v22
	s_delay_alu instid0(VALU_DEP_4) | instskip(NEXT) | instid1(VALU_DEP_4)
	v_fmac_f32_e32 v122, 0x3f167918, v22
	v_fmac_f32_e32 v99, 0x3f4f1bbd, v59
	v_dual_sub_f32 v59, v77, v113 :: v_dual_fmac_f32 v98, 0x3f4f1bbd, v76
	v_add_f32_e32 v22, v23, v82
	s_delay_alu instid0(VALU_DEP_3) | instskip(SKIP_1) | instid1(VALU_DEP_4)
	v_dual_fmac_f32 v51, 0xbf167918, v14 :: v_dual_sub_f32 v78, v92, v99
	v_fmac_f32_e32 v125, 0x3f167918, v14
	v_dual_sub_f32 v77, v87, v98 :: v_dual_fmamk_f32 v14, v74, 0x3f737871, v7
	v_fmac_f32_e32 v7, 0xbf737871, v74
	v_dual_mul_f32 v52, 0xbf4f1bbd, v97 :: v_dual_fmac_f32 v21, 0xbf4f1bbd, v80
	v_add_f32_e32 v76, v92, v99
	s_delay_alu instid0(VALU_DEP_4) | instskip(NEXT) | instid1(VALU_DEP_4)
	v_fmac_f32_e32 v14, 0x3f167918, v18
	v_dual_fmac_f32 v7, 0xbf167918, v18 :: v_dual_add_f32 v18, v93, v96
	v_fmac_f32_e32 v51, 0x3e9e377a, v22
	s_delay_alu instid0(VALU_DEP_3) | instskip(SKIP_1) | instid1(VALU_DEP_4)
	v_dual_fmac_f32 v125, 0x3e9e377a, v22 :: v_dual_fmac_f32 v14, 0x3e9e377a, v13
	v_lshl_add_u32 v66, v66, 3, 0
	v_fmac_f32_e32 v19, 0x3e9e377a, v18
	v_dual_fmac_f32 v133, 0x3e9e377a, v18 :: v_dual_add_f32 v18, v10, v104
	v_fmac_f32_e32 v7, 0x3e9e377a, v13
	v_dual_add_f32 v13, v91, v95 :: v_dual_fmac_f32 v152, 0x3e9e377a, v61
	v_mul_f32_e32 v61, 0x3e9e377a, v103
	global_wb scope:SCOPE_SE
	s_barrier_signal -1
	s_barrier_wait -1
	v_dual_add_f32 v97, v152, v21 :: v_dual_fmac_f32 v52, 0x3f167918, v80
	v_sub_f32_e32 v99, v152, v21
	v_add_f32_e32 v21, v73, v83
	v_fmac_f32_e32 v61, 0x3f737871, v123
	global_inv scope:SCOPE_SE
	ds_store_2addr_b64 v66, v[8:9], v[67:68] offset1:1
	ds_store_2addr_b64 v66, v[64:65], v[45:46] offset0:2 offset1:3
	ds_store_2addr_b64 v66, v[71:72], v[0:1] offset0:4 offset1:5
	;; [unrolled: 1-line block ×3, first 2 shown]
	v_fmac_f32_e32 v2, 0x3e9e377a, v21
	v_fmac_f32_e32 v122, 0x3e9e377a, v21
	v_fmamk_f32 v21, v88, 0x3f737871, v139
	v_dual_fmac_f32 v139, 0xbf737871, v88 :: v_dual_add_f32 v82, v128, v61
	v_add_f32_e32 v5, v75, v3
	v_sub_f32_e32 v3, v75, v3
	s_delay_alu instid0(VALU_DEP_4) | instskip(NEXT) | instid1(VALU_DEP_4)
	v_fmac_f32_e32 v21, 0x3f167918, v86
	v_fmac_f32_e32 v139, 0xbf167918, v86
	v_add_f32_e32 v75, v87, v98
	v_sub_f32_e32 v100, v147, v52
	v_add_f32_e32 v80, v110, v81
	s_delay_alu instid0(VALU_DEP_4) | instskip(SKIP_3) | instid1(VALU_DEP_4)
	v_dual_add_f32 v98, v147, v52 :: v_dual_fmac_f32 v139, 0x3e9e377a, v13
	v_mul_i32_i24_e32 v0, 10, v39
	v_sub_f32_e32 v85, v110, v81
	v_add_f32_e32 v81, v51, v54
	v_dual_sub_f32 v86, v51, v54 :: v_dual_mul_f32 v83, 0xbf167918, v139
	v_dual_mul_f32 v91, 0xbf4f1bbd, v139 :: v_dual_sub_f32 v10, v10, v104
	v_dual_sub_f32 v87, v128, v61 :: v_dual_and_b32 v8, 0xffff, v35
	s_delay_alu instid0(VALU_DEP_3) | instskip(SKIP_1) | instid1(VALU_DEP_4)
	v_fmac_f32_e32 v83, 0xbf4f1bbd, v133
	v_fmac_f32_e32 v21, 0x3e9e377a, v13
	;; [unrolled: 1-line block ×3, first 2 shown]
	v_mul_f32_e32 v13, 0x3f167918, v19
	s_delay_alu instid0(VALU_DEP_3) | instskip(NEXT) | instid1(VALU_DEP_3)
	v_dual_sub_f32 v90, v122, v83 :: v_dual_mul_f32 v23, 0xbf167918, v21
	v_add_f32_e32 v89, v7, v91
	v_sub_f32_e32 v91, v7, v91
	v_and_b32_e32 v7, 0xff, v28
	v_fmac_f32_e32 v13, 0x3f4f1bbd, v21
	v_fmac_f32_e32 v23, 0x3f4f1bbd, v19
	v_add_f32_e32 v19, v11, v116
	v_sub_f32_e32 v11, v11, v116
	v_mul_lo_u16 v1, 0xcd, v7
	v_add_f32_e32 v22, v14, v13
	v_add_f32_e32 v21, v2, v23
	v_sub_f32_e32 v73, v2, v23
	v_mul_i32_i24_e32 v2, 10, v28
	v_sub_f32_e32 v74, v14, v13
	v_lshl_add_u32 v13, v0, 3, 0
	v_dual_sub_f32 v55, v125, v136 :: v_dual_add_f32 v88, v122, v83
	s_delay_alu instid0(VALU_DEP_4)
	v_lshl_add_u32 v14, v2, 3, 0
	ds_store_2addr_b64 v66, v[47:48], v[62:63] offset0:8 offset1:9
	ds_store_2addr_b64 v14, v[57:58], v[75:76] offset1:1
	ds_store_2addr_b64 v14, v[79:80], v[5:6] offset0:2 offset1:3
	v_lshrrev_b16 v57, 11, v1
	v_and_b32_e32 v1, 0xff, v39
	ds_store_2addr_b64 v14, v[97:98], v[59:60] offset0:4 offset1:5
	ds_store_2addr_b64 v14, v[77:78], v[84:85] offset0:6 offset1:7
	;; [unrolled: 1-line block ×3, first 2 shown]
	v_and_b32_e32 v2, 0xffff, v38
	v_mul_lo_u16 v0, v57, 10
	v_mul_lo_u16 v3, 0xcd, v1
	v_add_f32_e32 v52, v125, v136
	ds_store_2addr_b64 v13, v[18:19], v[21:22] offset1:1
	ds_store_2addr_b64 v13, v[81:82], v[52:53] offset0:2 offset1:3
	v_sub_nc_u16 v0, v28, v0
	v_lshrrev_b16 v58, 11, v3
	v_mul_u32_u24_e32 v3, 0xcccd, v2
	v_add_nc_u32_e32 v22, 0x3c00, v41
	s_delay_alu instid0(VALU_DEP_4) | instskip(NEXT) | instid1(VALU_DEP_4)
	v_and_b32_e32 v63, 0xff, v0
	v_mul_lo_u16 v4, v58, 10
	s_delay_alu instid0(VALU_DEP_4)
	v_lshrrev_b32_e32 v54, 19, v3
	v_and_b32_e32 v0, 0xffff, v37
	ds_store_2addr_b64 v13, v[88:89], v[10:11] offset0:4 offset1:5
	ds_store_2addr_b64 v13, v[73:74], v[86:87] offset0:6 offset1:7
	v_and_b32_e32 v10, 0xffff, v34
	v_sub_nc_u16 v3, v39, v4
	v_lshlrev_b32_e32 v4, 4, v63
	v_mul_lo_u16 v5, v54, 10
	ds_store_2addr_b64 v13, v[55:56], v[90:91] offset0:8 offset1:9
	global_wb scope:SCOPE_SE
	s_wait_dscnt 0x0
	s_barrier_signal -1
	s_barrier_wait -1
	global_inv scope:SCOPE_SE
	global_load_b128 v[45:48], v4, s[8:9]
	v_sub_nc_u16 v4, v38, v5
	v_and_b32_e32 v61, 0xff, v3
	v_mul_u32_u24_e32 v6, 0xcccd, v0
	v_mul_u32_u24_e32 v54, 0xf0, v54
	v_and_b32_e32 v58, 0xffff, v58
	v_and_b32_e32 v60, 0xffff, v4
	v_lshlrev_b32_e32 v5, 4, v61
	v_lshrrev_b32_e32 v56, 19, v6
	s_delay_alu instid0(VALU_DEP_3)
	v_lshlrev_b32_e32 v9, 4, v60
	global_load_b128 v[65:68], v5, s[8:9]
	v_mul_lo_u16 v6, v56, 10
	v_mul_u32_u24_e32 v56, 0xf0, v56
	v_lshlrev_b32_e32 v60, 3, v60
	global_load_b128 v[69:72], v9, s[8:9]
	v_and_b32_e32 v3, 0xffff, v36
	v_add3_u32 v54, 0, v54, v60
	s_delay_alu instid0(VALU_DEP_2) | instskip(NEXT) | instid1(VALU_DEP_1)
	v_mul_u32_u24_e32 v4, 0xcccd, v3
	v_lshrrev_b32_e32 v5, 19, v4
	v_sub_nc_u16 v4, v37, v6
	v_mul_u32_u24_e32 v6, 0xcccd, v8
	s_delay_alu instid0(VALU_DEP_3) | instskip(NEXT) | instid1(VALU_DEP_3)
	v_mul_lo_u16 v9, v5, 10
	v_and_b32_e32 v62, 0xffff, v4
	s_delay_alu instid0(VALU_DEP_3) | instskip(SKIP_1) | instid1(VALU_DEP_4)
	v_lshrrev_b32_e32 v52, 19, v6
	v_mul_u32_u24_e32 v5, 0xf0, v5
	v_sub_nc_u16 v4, v36, v9
	v_mul_u32_u24_e32 v9, 0xcccd, v10
	s_delay_alu instid0(VALU_DEP_4)
	v_mul_lo_u16 v11, v52, 10
	v_lshlrev_b32_e32 v6, 4, v62
	v_mul_u32_u24_e32 v52, 0xf0, v52
	v_and_b32_e32 v55, 0xffff, v4
	v_lshrrev_b32_e32 v53, 19, v9
	v_sub_nc_u16 v4, v35, v11
	global_load_b128 v[73:76], v6, s[8:9]
	v_mul_lo_u16 v11, v53, 10
	v_and_b32_e32 v59, 0xffff, v4
	v_and_b32_e32 v4, 0xff, v24
	v_mul_u32_u24_e32 v53, 0xf0, v53
	s_delay_alu instid0(VALU_DEP_4) | instskip(NEXT) | instid1(VALU_DEP_1)
	v_sub_nc_u16 v11, v34, v11
	v_and_b32_e32 v64, 0xffff, v11
	s_delay_alu instid0(VALU_DEP_1)
	v_lshlrev_b32_e32 v21, 4, v64
	global_load_b128 v[85:88], v21, s[8:9]
	v_lshlrev_b32_e32 v6, 4, v55
	global_load_b128 v[77:80], v6, s[8:9]
	v_and_b32_e32 v9, 0xffff, v33
	v_and_b32_e32 v11, 0xffff, v32
	s_delay_alu instid0(VALU_DEP_2) | instskip(NEXT) | instid1(VALU_DEP_1)
	v_mul_u32_u24_e32 v18, 0xcccd, v9
	v_lshrrev_b32_e32 v6, 19, v18
	v_lshlrev_b32_e32 v18, 4, v59
	s_delay_alu instid0(VALU_DEP_2) | instskip(SKIP_3) | instid1(VALU_DEP_2)
	v_mul_lo_u16 v19, v6, 10
	global_load_b128 v[81:84], v18, s[8:9]
	v_mul_lo_u16 v18, 0xcd, v4
	v_sub_nc_u16 v19, v33, v19
	v_lshrrev_b16 v23, 11, v18
	v_mul_u32_u24_e32 v18, 0xcccd, v11
	s_delay_alu instid0(VALU_DEP_3) | instskip(NEXT) | instid1(VALU_DEP_3)
	v_and_b32_e32 v50, 0xffff, v19
	v_mul_lo_u16 v19, v23, 10
	s_delay_alu instid0(VALU_DEP_3) | instskip(NEXT) | instid1(VALU_DEP_3)
	v_lshrrev_b32_e32 v51, 19, v18
	v_lshlrev_b32_e32 v18, 4, v50
	s_delay_alu instid0(VALU_DEP_3) | instskip(NEXT) | instid1(VALU_DEP_3)
	v_sub_nc_u16 v19, v24, v19
	v_mul_lo_u16 v21, v51, 10
	global_load_b128 v[89:92], v18, s[8:9]
	v_and_b32_e32 v19, 0xff, v19
	v_sub_nc_u16 v18, v32, v21
	s_delay_alu instid0(VALU_DEP_2) | instskip(NEXT) | instid1(VALU_DEP_2)
	v_lshlrev_b32_e32 v21, 4, v19
	v_and_b32_e32 v49, 0xffff, v18
	global_load_b128 v[93:96], v21, s[8:9]
	v_lshlrev_b32_e32 v18, 4, v49
	global_load_b128 v[97:100], v18, s[8:9]
	ds_load_2addr_b64 v[101:104], v15 offset0:123 offset1:204
	ds_load_2addr_b64 v[105:108], v44 offset0:165 offset1:246
	;; [unrolled: 1-line block ×4, first 2 shown]
	s_wait_loadcnt_dscnt 0x903
	v_mul_f32_e32 v18, v101, v46
	s_wait_dscnt 0x2
	v_mul_f32_e32 v21, v105, v48
	v_mul_f32_e32 v117, v102, v46
	;; [unrolled: 1-line block ×3, first 2 shown]
	v_mul_lo_u16 v4, 0x89, v4
	v_fma_f32 v119, v102, v45, -v18
	v_fma_f32 v121, v106, v47, -v21
	v_fmac_f32_e32 v117, v101, v45
	v_fmac_f32_e32 v118, v105, v47
	s_wait_loadcnt 0x8
	v_mul_f32_e32 v18, v103, v66
	v_mul_f32_e32 v120, v104, v66
	s_wait_loadcnt_dscnt 0x701
	v_dual_mul_f32 v123, v108, v68 :: v_dual_mul_f32 v124, v110, v70
	s_delay_alu instid0(VALU_DEP_3)
	v_fma_f32 v122, v104, v65, -v18
	v_mul_f32_e32 v18, v107, v68
	v_fmac_f32_e32 v120, v103, v65
	ds_load_2addr_b64 v[101:104], v22 offset0:105 offset1:186
	v_fmac_f32_e32 v124, v109, v69
	s_wait_dscnt 0x1
	v_mul_f32_e32 v126, v114, v72
	v_fma_f32 v125, v108, v67, -v18
	v_dual_mul_f32 v18, v109, v70 :: v_dual_fmac_f32 v123, v107, v67
	ds_load_2addr_b64 v[105:108], v12 offset0:97 offset1:178
	v_fmac_f32_e32 v126, v113, v71
	v_mul_lo_u16 v7, 0x89, v7
	v_fma_f32 v128, v110, v69, -v18
	s_delay_alu instid0(VALU_DEP_2) | instskip(SKIP_3) | instid1(VALU_DEP_2)
	v_lshrrev_b16 v7, 12, v7
	s_wait_loadcnt 0x6
	v_mul_f32_e32 v127, v112, v74
	v_mul_f32_e32 v18, v111, v74
	v_fmac_f32_e32 v127, v111, v73
	s_delay_alu instid0(VALU_DEP_2)
	v_fma_f32 v129, v112, v73, -v18
	ds_load_2addr_b64 v[109:112], v20 offset0:139 offset1:220
	v_add_nc_u32_e32 v21, 0x2400, v41
	ds_load_2addr_b64 v[45:48], v21 offset0:63 offset1:144
	s_wait_loadcnt_dscnt 0x502
	v_mul_f32_e32 v68, v106, v86
	s_delay_alu instid0(VALU_DEP_1) | instskip(SKIP_4) | instid1(VALU_DEP_2)
	v_fmac_f32_e32 v68, v105, v85
	s_wait_loadcnt 0x4
	v_mul_f32_e32 v74, v102, v80
	s_wait_dscnt 0x0
	v_mul_f32_e32 v18, v45, v78
	v_fmac_f32_e32 v74, v101, v79
	s_wait_loadcnt 0x3
	v_mul_f32_e32 v22, v47, v82
	v_mul_f32_e32 v67, v48, v82
	s_delay_alu instid0(VALU_DEP_1) | instskip(NEXT) | instid1(VALU_DEP_1)
	v_dual_mul_f32 v70, v104, v84 :: v_dual_fmac_f32 v67, v47, v81
	v_dual_fmac_f32 v70, v103, v83 :: v_dual_lshlrev_b32 v49, 3, v49
	s_wait_loadcnt 0x2
	v_mul_f32_e32 v66, v112, v92
	v_mul_f32_e32 v21, v113, v72
	v_fma_f32 v72, v48, v81, -v22
	ds_load_b64 v[47:48], v41 offset:18792
	v_dual_mul_f32 v73, v46, v78 :: v_dual_fmac_f32 v66, v111, v91
	v_fma_f32 v113, v114, v71, -v21
	v_mul_f32_e32 v114, v116, v76
	v_mul_f32_e32 v21, v115, v76
	;; [unrolled: 1-line block ×3, first 2 shown]
	v_lshlrev_b32_e32 v63, 3, v63
	s_delay_alu instid0(VALU_DEP_4) | instskip(NEXT) | instid1(VALU_DEP_4)
	v_fmac_f32_e32 v114, v115, v75
	v_fma_f32 v115, v116, v75, -v21
	v_mul_f32_e32 v21, v101, v80
	v_fmac_f32_e32 v65, v107, v89
	v_and_b32_e32 v57, 0xffff, v57
	s_delay_alu instid0(VALU_DEP_3)
	v_fma_f32 v75, v102, v79, -v21
	ds_load_2addr_b32 v[21:22], v15 offset0:84 offset1:85
	ds_load_2addr_b64 v[79:82], v44 offset0:3 offset1:84
	v_fmac_f32_e32 v73, v45, v77
	v_mul_f32_e32 v45, v105, v86
	v_fma_f32 v77, v46, v77, -v18
	v_mul_f32_e32 v18, v103, v84
	v_lshl_add_u32 v46, v38, 3, 0
	v_mul_u32_u24_e32 v57, 0xf0, v57
	v_fma_f32 v71, v106, v85, -v45
	v_mul_f32_e32 v45, v107, v90
	v_fma_f32 v76, v104, v83, -v18
	v_mul_f32_e32 v18, v109, v88
	v_mul_f32_e32 v90, v111, v92
	v_add_f32_e32 v106, v119, v121
	v_fma_f32 v107, v108, v89, -v45
	v_add3_u32 v63, 0, v57, v63
	v_fma_f32 v78, v110, v87, -v18
	v_lshl_add_u32 v18, v37, 3, 0
	v_fma_f32 v108, v112, v91, -v90
	v_add_f32_e32 v57, v120, v123
	s_wait_loadcnt_dscnt 0x101
	v_mul_f32_e32 v45, v22, v94
	v_mul_f32_e32 v89, v94, v21
	s_wait_dscnt 0x0
	v_mul_f32_e32 v90, v82, v96
	v_mul_f32_e32 v91, v81, v96
	v_add_f32_e32 v96, v117, v118
	v_fmac_f32_e32 v45, v93, v21
	v_mul_f32_e32 v69, v110, v88
	v_fma_f32 v21, v22, v93, -v89
	v_fmac_f32_e32 v90, v81, v95
	s_wait_loadcnt 0x0
	v_mul_f32_e32 v22, v79, v98
	v_fma_f32 v82, v82, v95, -v91
	v_fmac_f32_e32 v69, v109, v87
	ds_load_b64 v[83:84], v18
	ds_load_b64 v[85:86], v46
	;; [unrolled: 1-line block ×3, first 2 shown]
	v_mul_f32_e32 v81, v47, v100
	v_fma_f32 v111, v80, v97, -v22
	v_add_f32_e32 v22, v45, v90
	v_dual_mul_f32 v110, v48, v100 :: v_dual_lshlrev_b32 v61, 3, v61
	s_delay_alu instid0(VALU_DEP_4) | instskip(NEXT) | instid1(VALU_DEP_2)
	v_fma_f32 v112, v48, v99, -v81
	v_fmac_f32_e32 v110, v47, v99
	v_mad_i32_i24 v47, 0xffffffb8, v28, v14
	s_wait_dscnt 0x0
	v_add_f32_e32 v48, v87, v45
	v_fma_f32 v87, -0.5, v22, v87
	v_dual_add_f32 v23, v21, v82 :: v_dual_and_b32 v22, 0xffff, v23
	v_add_f32_e32 v89, v88, v21
	s_delay_alu instid0(VALU_DEP_4) | instskip(SKIP_1) | instid1(VALU_DEP_4)
	v_add_f32_e32 v81, v48, v90
	v_mad_i32_i24 v48, 0xffffffb8, v39, v13
	v_dual_fmac_f32 v88, -0.5, v23 :: v_dual_mul_f32 v109, v80, v98
	v_lshl_add_u32 v23, v35, 3, 0
	ds_load_b64 v[91:92], v48
	v_sub_f32_e32 v95, v21, v82
	v_mul_u32_u24_e32 v21, 0xf0, v22
	v_fmac_f32_e32 v109, v79, v97
	ds_load_b64 v[79:80], v47
	v_dual_add_f32 v82, v89, v82 :: v_dual_lshlrev_b32 v19, 3, v19
	v_fmamk_f32 v89, v95, 0xbf5db3d7, v87
	v_fmac_f32_e32 v87, 0x3f5db3d7, v95
	v_lshl_add_u32 v22, v33, 3, 0
	s_delay_alu instid0(VALU_DEP_4)
	v_add3_u32 v116, 0, v21, v19
	v_lshl_add_u32 v19, v32, 3, 0
	v_lshl_add_u32 v21, v34, 3, 0
	ds_load_b64 v[93:94], v19
	s_wait_dscnt 0x1
	v_add_f32_e32 v98, v80, v119
	v_fmac_f32_e32 v80, -0.5, v106
	v_sub_f32_e32 v105, v45, v90
	v_add_f32_e32 v97, v79, v117
	v_fma_f32 v79, -0.5, v96, v79
	v_sub_f32_e32 v119, v119, v121
	v_sub_f32_e32 v117, v117, v118
	v_fmamk_f32 v90, v105, 0x3f5db3d7, v88
	v_lshl_add_u32 v45, v36, 3, 0
	v_dual_fmac_f32 v88, 0xbf5db3d7, v105 :: v_dual_add_f32 v95, v97, v118
	v_dual_add_f32 v96, v98, v121 :: v_dual_fmamk_f32 v105, v119, 0xbf5db3d7, v79
	v_fmamk_f32 v106, v117, 0x3f5db3d7, v80
	ds_load_b64 v[97:98], v45
	ds_load_b64 v[99:100], v23
	;; [unrolled: 1-line block ×4, first 2 shown]
	global_wb scope:SCOPE_SE
	s_wait_dscnt 0x0
	s_barrier_signal -1
	s_barrier_wait -1
	global_inv scope:SCOPE_SE
	ds_store_2addr_b64 v116, v[81:82], v[89:90] offset1:10
	ds_store_b64 v116, v[87:88] offset:160
	ds_store_2addr_b64 v63, v[95:96], v[105:106] offset1:10
	v_add_f32_e32 v81, v91, v120
	v_fma_f32 v91, -0.5, v57, v91
	v_dual_add_f32 v57, v122, v125 :: v_dual_add_f32 v82, v92, v122
	v_sub_f32_e32 v87, v122, v125
	v_mul_u32_u24_e32 v88, 0xf0, v58
	s_delay_alu instid0(VALU_DEP_3)
	v_dual_sub_f32 v89, v120, v123 :: v_dual_fmac_f32 v92, -0.5, v57
	v_fmac_f32_e32 v79, 0x3f5db3d7, v119
	v_dual_fmac_f32 v80, 0xbf5db3d7, v117 :: v_dual_add_f32 v57, v81, v123
	v_add_f32_e32 v58, v82, v125
	v_add3_u32 v61, 0, v88, v61
	v_fmamk_f32 v81, v87, 0xbf5db3d7, v91
	v_dual_fmamk_f32 v82, v89, 0x3f5db3d7, v92 :: v_dual_fmac_f32 v91, 0x3f5db3d7, v87
	v_fmac_f32_e32 v92, 0xbf5db3d7, v89
	ds_store_b64 v63, v[79:80] offset:160
	ds_store_2addr_b64 v61, v[57:58], v[81:82] offset1:10
	v_dual_add_f32 v87, v124, v126 :: v_dual_add_f32 v58, v86, v128
	ds_store_b64 v61, v[91:92] offset:160
	v_add_f32_e32 v61, v128, v113
	v_sub_f32_e32 v79, v124, v126
	v_add_f32_e32 v57, v85, v124
	v_fma_f32 v85, -0.5, v87, v85
	v_sub_f32_e32 v63, v128, v113
	v_fmac_f32_e32 v86, -0.5, v61
	v_add_f32_e32 v80, v127, v114
	v_dual_add_f32 v57, v57, v126 :: v_dual_add_f32 v58, v58, v113
	s_delay_alu instid0(VALU_DEP_4) | instskip(NEXT) | instid1(VALU_DEP_4)
	v_fmamk_f32 v60, v63, 0xbf5db3d7, v85
	v_fmamk_f32 v61, v79, 0x3f5db3d7, v86
	v_fmac_f32_e32 v86, 0xbf5db3d7, v79
	v_add_f32_e32 v79, v129, v115
	v_fmac_f32_e32 v85, 0x3f5db3d7, v63
	v_add_f32_e32 v63, v83, v127
	v_fma_f32 v83, -0.5, v80, v83
	v_dual_add_f32 v80, v84, v129 :: v_dual_sub_f32 v81, v129, v115
	v_lshlrev_b32_e32 v82, 3, v62
	v_dual_fmac_f32 v84, -0.5, v79 :: v_dual_sub_f32 v87, v127, v114
	s_delay_alu instid0(VALU_DEP_3) | instskip(NEXT) | instid1(VALU_DEP_3)
	v_dual_add_f32 v62, v63, v114 :: v_dual_add_f32 v63, v80, v115
	v_add3_u32 v56, 0, v56, v82
	v_fmamk_f32 v79, v81, 0xbf5db3d7, v83
	s_delay_alu instid0(VALU_DEP_4)
	v_fmamk_f32 v80, v87, 0x3f5db3d7, v84
	ds_store_2addr_b64 v54, v[57:58], v[60:61] offset1:10
	ds_store_b64 v54, v[85:86] offset:160
	v_dual_add_f32 v54, v73, v74 :: v_dual_fmac_f32 v83, 0x3f5db3d7, v81
	v_fmac_f32_e32 v84, 0xbf5db3d7, v87
	ds_store_2addr_b64 v56, v[62:63], v[79:80] offset1:10
	ds_store_b64 v56, v[83:84] offset:160
	v_add_f32_e32 v56, v97, v73
	v_add_f32_e32 v57, v77, v75
	v_fma_f32 v97, -0.5, v54, v97
	v_add_f32_e32 v54, v98, v77
	v_sub_f32_e32 v58, v77, v75
	v_sub_f32_e32 v62, v73, v74
	v_fmac_f32_e32 v98, -0.5, v57
	s_delay_alu instid0(VALU_DEP_4) | instskip(NEXT) | instid1(VALU_DEP_4)
	v_dual_add_f32 v56, v56, v74 :: v_dual_add_f32 v57, v54, v75
	v_fmamk_f32 v60, v58, 0xbf5db3d7, v97
	v_add_f32_e32 v54, v67, v70
	v_dual_fmac_f32 v97, 0x3f5db3d7, v58 :: v_dual_add_f32 v58, v99, v67
	v_fmamk_f32 v61, v62, 0x3f5db3d7, v98
	v_fmac_f32_e32 v98, 0xbf5db3d7, v62
	s_delay_alu instid0(VALU_DEP_4) | instskip(SKIP_4) | instid1(VALU_DEP_2)
	v_fma_f32 v99, -0.5, v54, v99
	v_sub_f32_e32 v54, v72, v76
	v_add_f32_e32 v62, v58, v70
	v_dual_add_f32 v58, v101, v68 :: v_dual_sub_f32 v67, v67, v70
	v_dual_add_f32 v63, v100, v72 :: v_dual_add_f32 v70, v71, v78
	v_dual_add_f32 v77, v111, v112 :: v_dual_add_f32 v74, v58, v69
	v_sub_f32_e32 v58, v68, v69
	v_dual_add_f32 v73, v72, v76 :: v_dual_fmamk_f32 v72, v54, 0xbf5db3d7, v99
	v_dual_fmac_f32 v99, 0x3f5db3d7, v54 :: v_dual_add_f32 v54, v68, v69
	s_delay_alu instid0(VALU_DEP_2) | instskip(SKIP_1) | instid1(VALU_DEP_3)
	v_dual_add_f32 v69, v65, v66 :: v_dual_fmac_f32 v100, -0.5, v73
	v_dual_add_f32 v73, v102, v71 :: v_dual_fmac_f32 v102, -0.5, v70
	v_fma_f32 v101, -0.5, v54, v101
	v_sub_f32_e32 v54, v71, v78
	s_delay_alu instid0(VALU_DEP_3) | instskip(NEXT) | instid1(VALU_DEP_4)
	v_dual_add_f32 v70, v104, v107 :: v_dual_add_f32 v75, v73, v78
	v_fmamk_f32 v68, v58, 0x3f5db3d7, v102
	v_fmac_f32_e32 v102, 0xbf5db3d7, v58
	v_add_f32_e32 v58, v107, v108
	s_delay_alu instid0(VALU_DEP_4)
	v_dual_add_f32 v70, v70, v108 :: v_dual_fmamk_f32 v73, v67, 0x3f5db3d7, v100
	v_dual_fmac_f32 v100, 0xbf5db3d7, v67 :: v_dual_fmamk_f32 v67, v54, 0xbf5db3d7, v101
	v_dual_fmac_f32 v101, 0x3f5db3d7, v54 :: v_dual_add_f32 v54, v103, v65
	v_fma_f32 v103, -0.5, v69, v103
	v_dual_add_f32 v63, v63, v76 :: v_dual_fmac_f32 v104, -0.5, v58
	v_dual_sub_f32 v71, v107, v108 :: v_dual_sub_f32 v78, v65, v66
	s_delay_alu instid0(VALU_DEP_4) | instskip(SKIP_2) | instid1(VALU_DEP_4)
	v_add_f32_e32 v69, v54, v66
	v_add_f32_e32 v54, v109, v110
	;; [unrolled: 1-line block ×3, first 2 shown]
	v_fmamk_f32 v76, v71, 0xbf5db3d7, v103
	v_fmac_f32_e32 v103, 0x3f5db3d7, v71
	v_add_f32_e32 v71, v94, v111
	v_fma_f32 v93, -0.5, v54, v93
	v_dual_sub_f32 v54, v111, v112 :: v_dual_add_f32 v65, v58, v110
	v_fmac_f32_e32 v94, -0.5, v77
	v_dual_sub_f32 v58, v109, v110 :: v_dual_lshlrev_b32 v55, 3, v55
	v_fmamk_f32 v77, v78, 0x3f5db3d7, v104
	v_fmac_f32_e32 v104, 0xbf5db3d7, v78
	v_fmamk_f32 v78, v54, 0xbf5db3d7, v93
	v_dual_fmac_f32 v93, 0x3f5db3d7, v54 :: v_dual_lshlrev_b32 v54, 3, v59
	v_fmamk_f32 v79, v58, 0x3f5db3d7, v94
	v_fmac_f32_e32 v94, 0xbf5db3d7, v58
	v_add3_u32 v5, 0, v5, v55
	v_lshlrev_b32_e32 v55, 3, v64
	v_add3_u32 v52, 0, v52, v54
	v_mul_lo_u16 v54, 0x89, v1
	v_add_f32_e32 v66, v71, v112
	ds_store_2addr_b64 v5, v[56:57], v[60:61] offset1:10
	v_add3_u32 v53, 0, v53, v55
	ds_store_b64 v5, v[97:98] offset:160
	ds_store_2addr_b64 v52, v[62:63], v[72:73] offset1:10
	ds_store_b64 v52, v[99:100] offset:160
	ds_store_2addr_b64 v53, v[74:75], v[67:68] offset1:10
	v_lshrrev_b16 v56, 12, v54
	v_mul_u32_u24_e32 v5, 0xf0, v6
	v_lshlrev_b32_e32 v6, 3, v50
	v_mul_u32_u24_e32 v50, 0xf0, v51
	v_mul_u32_u24_e32 v51, 0x8889, v2
	v_mul_lo_u16 v52, v56, 30
	ds_store_b64 v53, v[101:102] offset:160
	v_add3_u32 v5, 0, v5, v6
	ds_store_2addr_b64 v5, v[69:70], v[76:77] offset1:10
	ds_store_b64 v5, v[103:104] offset:160
	v_lshrrev_b32_e32 v54, 20, v51
	v_sub_nc_u16 v6, v39, v52
	v_add3_u32 v49, 0, v50, v49
	v_lshrrev_b16 v118, 12, v4
	v_mul_lo_u16 v95, v7, 30
	v_mul_lo_u16 v5, v54, 30
	v_and_b32_e32 v59, 0xff, v6
	v_mul_u32_u24_e32 v6, 0x8889, v0
	v_mul_lo_u16 v90, v118, 30
	v_mul_u32_u24_e32 v54, 0x2d0, v54
	v_sub_nc_u16 v5, v38, v5
	v_mul_lo_u16 v1, 0xb7, v1
	v_lshrrev_b32_e32 v55, 20, v6
	v_mul_u32_u24_e32 v2, 0x2d83, v2
	v_mul_u32_u24_e32 v0, 0x2d83, v0
	v_and_b32_e32 v60, 0xffff, v5
	v_mul_u32_u24_e32 v5, 0x8889, v3
	v_mul_lo_u16 v6, v55, 30
	ds_store_2addr_b64 v49, v[65:66], v[78:79] offset1:10
	v_and_b32_e32 v7, 0xffff, v7
	v_lshrrev_b32_e32 v50, 20, v5
	v_sub_nc_u16 v5, v37, v6
	v_lshlrev_b32_e32 v6, 4, v60
	ds_store_b64 v49, v[93:94] offset:160
	v_lshlrev_b32_e32 v49, 4, v59
	global_wb scope:SCOPE_SE
	s_wait_dscnt 0x0
	s_barrier_signal -1
	s_barrier_wait -1
	global_inv scope:SCOPE_SE
	s_clause 0x1
	global_load_b128 v[62:65], v49, s[8:9] offset:160
	global_load_b128 v[66:69], v6, s[8:9] offset:160
	v_mul_u32_u24_e32 v49, 0x8889, v8
	v_mul_lo_u16 v52, v50, 30
	v_and_b32_e32 v61, 0xffff, v5
	v_sub_nc_u16 v94, v24, v90
	v_mul_u32_u24_e32 v7, 0x2d0, v7
	v_lshrrev_b32_e32 v51, 20, v49
	v_sub_nc_u16 v5, v36, v52
	v_lshlrev_b32_e32 v6, 4, v61
	v_mul_u32_u24_e32 v49, 0x8889, v10
	s_delay_alu instid0(VALU_DEP_4) | instskip(NEXT) | instid1(VALU_DEP_4)
	v_mul_lo_u16 v57, v51, 30
	v_and_b32_e32 v53, 0xffff, v5
	global_load_b128 v[70:73], v6, s[8:9] offset:160
	v_lshrrev_b32_e32 v52, 20, v49
	v_mul_u32_u24_e32 v49, 0x8889, v9
	v_sub_nc_u16 v5, v35, v57
	s_delay_alu instid0(VALU_DEP_3) | instskip(SKIP_1) | instid1(VALU_DEP_3)
	v_mul_lo_u16 v58, v52, 30
	v_mul_u32_u24_e32 v52, 0x2d0, v52
	v_and_b32_e32 v57, 0xffff, v5
	v_lshrrev_b32_e32 v5, 20, v49
	v_mul_u32_u24_e32 v49, 0x8889, v11
	s_delay_alu instid0(VALU_DEP_3) | instskip(NEXT) | instid1(VALU_DEP_3)
	v_lshlrev_b32_e32 v78, 4, v57
	v_mul_lo_u16 v82, v5, 30
	global_load_b128 v[78:81], v78, s[8:9] offset:160
	v_and_b32_e32 v119, 0xff, v94
	v_lshlrev_b32_e32 v6, 4, v53
	v_sub_nc_u16 v94, v28, v95
	s_delay_alu instid0(VALU_DEP_3)
	v_lshlrev_b32_e32 v95, 4, v119
	global_load_b128 v[74:77], v6, s[8:9] offset:160
	v_and_b32_e32 v120, 0xff, v94
	global_load_b128 v[94:97], v95, s[8:9] offset:160
	v_sub_nc_u16 v6, v34, v58
	v_lshlrev_b32_e32 v98, 4, v120
	s_delay_alu instid0(VALU_DEP_2)
	v_and_b32_e32 v58, 0xffff, v6
	v_lshrrev_b32_e32 v6, 20, v49
	v_sub_nc_u16 v49, v33, v82
	global_load_b128 v[98:101], v98, s[8:9] offset:160
	v_lshlrev_b32_e32 v82, 4, v58
	v_mul_lo_u16 v86, v6, 30
	v_and_b32_e32 v49, 0xffff, v49
	v_mul_u32_u24_e32 v6, 0x2d0, v6
	global_load_b128 v[82:85], v82, s[8:9] offset:160
	v_sub_nc_u16 v86, v32, v86
	v_lshlrev_b32_e32 v87, 4, v49
	s_delay_alu instid0(VALU_DEP_2)
	v_and_b32_e32 v4, 0xffff, v86
	global_load_b128 v[86:89], v87, s[8:9] offset:160
	v_lshlrev_b32_e32 v91, 4, v4
	global_load_b128 v[90:93], v91, s[8:9] offset:160
	ds_load_2addr_b64 v[102:105], v42 offset0:76 offset1:157
	ds_load_2addr_b64 v[106:109], v17 offset0:118 offset1:199
	;; [unrolled: 1-line block ×4, first 2 shown]
	s_wait_loadcnt_dscnt 0x903
	v_mul_f32_e32 v121, v103, v63
	s_wait_dscnt 0x2
	v_dual_mul_f32 v63, v102, v63 :: v_dual_mul_f32 v122, v107, v65
	v_mul_f32_e32 v65, v106, v65
	s_wait_loadcnt 0x8
	v_dual_mul_f32 v124, v109, v69 :: v_dual_fmac_f32 v121, v102, v62
	s_delay_alu instid0(VALU_DEP_3)
	v_fma_f32 v123, v103, v62, -v63
	v_fmac_f32_e32 v122, v106, v64
	v_mul_f32_e32 v106, v105, v67
	v_mul_f32_e32 v62, v104, v67
	v_fma_f32 v107, v107, v64, -v65
	v_mul_f32_e32 v67, v108, v69
	v_fmac_f32_e32 v124, v108, v68
	v_fmac_f32_e32 v106, v104, v66
	v_fma_f32 v125, v105, v66, -v62
	ds_load_2addr_b64 v[62:65], v12 offset0:16 offset1:97
	s_wait_loadcnt_dscnt 0x702
	v_mul_f32_e32 v108, v111, v71
	ds_load_2addr_b64 v[102:105], v20 offset0:58 offset1:139
	v_mul_f32_e32 v66, v110, v71
	s_wait_dscnt 0x2
	v_mul_f32_e32 v126, v115, v73
	v_fma_f32 v109, v109, v68, -v67
	v_mul_f32_e32 v67, v114, v73
	v_fmac_f32_e32 v108, v110, v70
	v_fma_f32 v110, v111, v70, -v66
	v_dual_fmac_f32 v126, v114, v72 :: v_dual_lshlrev_b32 v61, 3, v61
	s_delay_alu instid0(VALU_DEP_4)
	v_fma_f32 v114, v115, v72, -v67
	ds_load_2addr_b64 v[66:69], v29 offset0:50 offset1:131
	v_lshlrev_b32_e32 v58, 3, v58
	v_lshlrev_b32_e32 v4, 3, v4
	;; [unrolled: 1-line block ×4, first 2 shown]
	s_delay_alu instid0(VALU_DEP_4) | instskip(NEXT) | instid1(VALU_DEP_4)
	v_add3_u32 v52, 0, v52, v58
	v_add3_u32 v4, 0, v6, v4
	s_wait_loadcnt 0x5
	v_mul_f32_e32 v111, v113, v75
	v_dual_mul_f32 v70, v112, v75 :: v_dual_mul_f32 v115, v117, v77
	v_mul_f32_e32 v75, v116, v77
	s_delay_alu instid0(VALU_DEP_3) | instskip(NEXT) | instid1(VALU_DEP_3)
	v_fmac_f32_e32 v111, v112, v74
	v_fma_f32 v112, v113, v74, -v70
	ds_load_2addr_b64 v[70:73], v16 offset0:92 offset1:173
	s_wait_dscnt 0x2
	v_dual_fmac_f32 v115, v116, v76 :: v_dual_mul_f32 v116, v103, v81
	v_mul_f32_e32 v113, v63, v79
	v_mul_f32_e32 v74, v62, v79
	v_fma_f32 v117, v117, v76, -v75
	v_mul_f32_e32 v75, v102, v81
	v_fmac_f32_e32 v116, v102, v80
	v_fmac_f32_e32 v113, v62, v78
	v_fma_f32 v127, v63, v78, -v74
	s_wait_loadcnt 0x2
	v_mul_f32_e32 v128, v105, v85
	v_mul_f32_e32 v102, v65, v83
	;; [unrolled: 1-line block ×3, first 2 shown]
	v_fma_f32 v103, v103, v80, -v75
	v_mul_f32_e32 v76, v104, v85
	ds_load_b64 v[74:75], v41 offset:6480
	v_fmac_f32_e32 v102, v64, v82
	s_wait_loadcnt_dscnt 0x102
	v_dual_fmac_f32 v128, v104, v84 :: v_dual_mul_f32 v77, v66, v87
	v_fma_f32 v129, v65, v82, -v62
	ds_load_2addr_b64 v[62:65], v44 offset0:84 offset1:165
	v_fma_f32 v105, v105, v84, -v76
	v_fma_f32 v131, v67, v86, -v77
	s_wait_loadcnt_dscnt 0x2
	v_dual_mul_f32 v133, v73, v93 :: v_dual_mul_f32 v104, v67, v87
	v_mul_f32_e32 v78, v72, v93
	s_delay_alu instid0(VALU_DEP_2)
	v_dual_fmac_f32 v133, v72, v92 :: v_dual_fmac_f32 v104, v66, v86
	ds_load_2addr_b32 v[66:67], v15 offset0:246 offset1:247
	s_wait_dscnt 0x2
	v_dual_mul_f32 v76, v70, v89 :: v_dual_mul_f32 v79, v95, v75
	v_mul_f32_e32 v130, v71, v89
	v_mul_f32_e32 v80, v95, v74
	v_fma_f32 v92, v73, v92, -v78
	s_delay_alu instid0(VALU_DEP_4) | instskip(NEXT) | instid1(VALU_DEP_4)
	v_fmac_f32_e32 v79, v94, v74
	v_fmac_f32_e32 v130, v70, v88
	s_delay_alu instid0(VALU_DEP_4) | instskip(SKIP_2) | instid1(VALU_DEP_1)
	v_fma_f32 v73, v94, v75, -v80
	s_wait_dscnt 0x0
	v_mul_f32_e32 v87, v67, v99
	v_dual_mul_f32 v132, v69, v91 :: v_dual_fmac_f32 v87, v98, v66
	v_mul_f32_e32 v74, v97, v62
	s_delay_alu instid0(VALU_DEP_2) | instskip(NEXT) | instid1(VALU_DEP_2)
	v_fmac_f32_e32 v132, v68, v90
	v_fma_f32 v74, v96, v63, -v74
	v_mul_f32_e32 v70, v68, v91
	v_dual_mul_f32 v72, v97, v63 :: v_dual_mul_f32 v63, v99, v66
	v_fma_f32 v91, v71, v88, -v76
	s_delay_alu instid0(VALU_DEP_4) | instskip(NEXT) | instid1(VALU_DEP_3)
	v_sub_f32_e32 v93, v73, v74
	v_fmac_f32_e32 v72, v96, v62
	s_delay_alu instid0(VALU_DEP_4)
	v_fma_f32 v89, v67, v98, -v63
	v_add_f32_e32 v63, v73, v74
	v_fma_f32 v90, v69, v90, -v70
	ds_load_b64 v[68:69], v46
	ds_load_b64 v[70:71], v18
	;; [unrolled: 1-line block ×3, first 2 shown]
	v_mul_f32_e32 v62, v64, v101
	v_sub_f32_e32 v94, v79, v72
	s_delay_alu instid0(VALU_DEP_2) | instskip(SKIP_1) | instid1(VALU_DEP_2)
	v_fma_f32 v88, v65, v100, -v62
	v_add_f32_e32 v62, v79, v72
	v_sub_f32_e32 v97, v89, v88
	s_wait_dscnt 0x0
	v_dual_add_f32 v66, v77, v73 :: v_dual_fmac_f32 v77, -0.5, v63
	v_dual_mul_f32 v86, v65, v101 :: v_dual_and_b32 v65, 0xffff, v118
	v_lshlrev_b32_e32 v73, 3, v119
	s_delay_alu instid0(VALU_DEP_2) | instskip(NEXT) | instid1(VALU_DEP_4)
	v_mul_u32_u24_e32 v67, 0x2d0, v65
	v_add_f32_e32 v65, v66, v74
	s_delay_alu instid0(VALU_DEP_2)
	v_add3_u32 v95, 0, v67, v73
	v_fmamk_f32 v67, v94, 0x3f5db3d7, v77
	v_dual_fmac_f32 v77, 0xbf5db3d7, v94 :: v_dual_add_f32 v94, v89, v88
	v_fmac_f32_e32 v86, v64, v100
	v_add_f32_e32 v64, v76, v79
	v_fma_f32 v76, -0.5, v62, v76
	ds_load_b64 v[62:63], v47
	v_add_f32_e32 v96, v87, v86
	v_fmamk_f32 v66, v93, 0xbf5db3d7, v76
	s_wait_dscnt 0x0
	v_dual_fmac_f32 v76, 0x3f5db3d7, v93 :: v_dual_add_f32 v93, v62, v87
	s_delay_alu instid0(VALU_DEP_3)
	v_fma_f32 v62, -0.5, v96, v62
	v_dual_add_f32 v96, v63, v89 :: v_dual_fmac_f32 v63, -0.5, v94
	v_sub_f32_e32 v94, v87, v86
	v_add_f32_e32 v64, v64, v72
	ds_load_b64 v[72:73], v48
	ds_load_b64 v[74:75], v45
	;; [unrolled: 1-line block ×6, first 2 shown]
	v_lshlrev_b32_e32 v89, 3, v120
	global_wb scope:SCOPE_SE
	s_wait_dscnt 0x0
	s_barrier_signal -1
	s_barrier_wait -1
	global_inv scope:SCOPE_SE
	v_dual_add_f32 v86, v93, v86 :: v_dual_add_f32 v87, v96, v88
	v_add3_u32 v7, 0, v7, v89
	v_fmamk_f32 v88, v97, 0xbf5db3d7, v62
	v_fmamk_f32 v89, v94, 0x3f5db3d7, v63
	v_fmac_f32_e32 v63, 0xbf5db3d7, v94
	ds_store_2addr_b64 v95, v[64:65], v[66:67] offset1:30
	ds_store_b64 v95, v[76:77] offset:480
	v_dual_add_f32 v64, v121, v122 :: v_dual_sub_f32 v77, v106, v124
	v_dual_fmac_f32 v62, 0x3f5db3d7, v97 :: v_dual_lshlrev_b32 v67, 3, v60
	ds_store_2addr_b64 v7, v[86:87], v[88:89] offset1:30
	ds_store_b64 v7, v[62:63] offset:480
	v_add_f32_e32 v7, v72, v121
	v_fma_f32 v72, -0.5, v64, v72
	v_sub_f32_e32 v66, v121, v122
	v_add_f32_e32 v64, v123, v107
	s_delay_alu instid0(VALU_DEP_4) | instskip(SKIP_1) | instid1(VALU_DEP_3)
	v_dual_add_f32 v63, v73, v123 :: v_dual_add_f32 v62, v7, v122
	v_sub_f32_e32 v88, v108, v126
	v_dual_sub_f32 v76, v125, v109 :: v_dual_fmac_f32 v73, -0.5, v64
	v_sub_f32_e32 v86, v110, v114
	v_mul_u32_u24_e32 v87, 0x2d0, v55
	v_add_f32_e32 v63, v63, v107
	s_delay_alu instid0(VALU_DEP_4) | instskip(SKIP_3) | instid1(VALU_DEP_2)
	v_fmamk_f32 v65, v66, 0x3f5db3d7, v73
	v_dual_fmac_f32 v73, 0xbf5db3d7, v66 :: v_dual_add_f32 v66, v125, v109
	v_and_b32_e32 v56, 0xffff, v56
	v_add3_u32 v61, 0, v87, v61
	v_mul_u32_u24_e32 v7, 0x2d0, v56
	v_lshlrev_b32_e32 v56, 3, v59
	v_sub_f32_e32 v59, v123, v107
	s_delay_alu instid0(VALU_DEP_2) | instskip(SKIP_1) | instid1(VALU_DEP_3)
	v_add3_u32 v7, 0, v7, v56
	v_add_f32_e32 v56, v106, v124
	v_fmamk_f32 v64, v59, 0xbf5db3d7, v72
	v_dual_fmac_f32 v72, 0x3f5db3d7, v59 :: v_dual_add_f32 v59, v68, v106
	s_delay_alu instid0(VALU_DEP_3) | instskip(SKIP_1) | instid1(VALU_DEP_2)
	v_fma_f32 v68, -0.5, v56, v68
	v_dual_add_f32 v56, v69, v125 :: v_dual_fmac_f32 v69, -0.5, v66
	v_dual_add_f32 v59, v59, v124 :: v_dual_fmamk_f32 v66, v76, 0xbf5db3d7, v68
	s_delay_alu instid0(VALU_DEP_2)
	v_add_f32_e32 v60, v56, v109
	v_add3_u32 v56, 0, v54, v67
	v_add_f32_e32 v54, v108, v126
	v_fmac_f32_e32 v68, 0x3f5db3d7, v76
	v_dual_add_f32 v76, v70, v108 :: v_dual_fmamk_f32 v67, v77, 0x3f5db3d7, v69
	v_fmac_f32_e32 v69, 0xbf5db3d7, v77
	s_delay_alu instid0(VALU_DEP_4) | instskip(SKIP_2) | instid1(VALU_DEP_2)
	v_fma_f32 v70, -0.5, v54, v70
	v_add_f32_e32 v54, v110, v114
	v_add_f32_e32 v77, v71, v110
	v_fmac_f32_e32 v71, -0.5, v54
	v_add_f32_e32 v54, v76, v126
	s_delay_alu instid0(VALU_DEP_3) | instskip(NEXT) | instid1(VALU_DEP_3)
	v_dual_add_f32 v55, v77, v114 :: v_dual_fmamk_f32 v76, v86, 0xbf5db3d7, v70
	v_fmamk_f32 v77, v88, 0x3f5db3d7, v71
	ds_store_2addr_b64 v7, v[62:63], v[64:65] offset1:30
	ds_store_b64 v7, v[72:73] offset:480
	ds_store_2addr_b64 v56, v[59:60], v[66:67] offset1:30
	ds_store_b64 v56, v[68:69] offset:480
	ds_store_2addr_b64 v61, v[54:55], v[76:77] offset1:30
	v_add_f32_e32 v7, v111, v115
	v_add_f32_e32 v54, v74, v111
	v_dual_sub_f32 v63, v111, v115 :: v_dual_add_f32 v56, v112, v117
	v_add_f32_e32 v55, v75, v112
	s_delay_alu instid0(VALU_DEP_4) | instskip(SKIP_1) | instid1(VALU_DEP_4)
	v_fma_f32 v74, -0.5, v7, v74
	v_dual_sub_f32 v7, v112, v117 :: v_dual_add_f32 v60, v79, v127
	v_fmac_f32_e32 v75, -0.5, v56
	v_dual_add_f32 v65, v102, v128 :: v_dual_sub_f32 v68, v129, v105
	s_delay_alu instid0(VALU_DEP_3)
	v_fmamk_f32 v59, v7, 0xbf5db3d7, v74
	v_dual_fmac_f32 v74, 0x3f5db3d7, v7 :: v_dual_add_f32 v7, v113, v116
	v_fmac_f32_e32 v70, 0x3f5db3d7, v86
	v_add_f32_e32 v56, v78, v113
	v_add_f32_e32 v64, v127, v103
	;; [unrolled: 1-line block ×3, first 2 shown]
	v_fma_f32 v78, -0.5, v7, v78
	v_sub_f32_e32 v7, v127, v103
	v_fmac_f32_e32 v71, 0xbf5db3d7, v88
	v_fmamk_f32 v60, v63, 0x3f5db3d7, v75
	v_fmac_f32_e32 v75, 0xbf5db3d7, v63
	v_add_f32_e32 v72, v131, v91
	v_dual_fmamk_f32 v63, v7, 0xbf5db3d7, v78 :: v_dual_add_f32 v54, v54, v115
	v_dual_fmac_f32 v78, 0x3f5db3d7, v7 :: v_dual_add_f32 v7, v80, v102
	v_fma_f32 v80, -0.5, v65, v80
	ds_store_b64 v61, v[70:71] offset:480
	v_fmac_f32_e32 v79, -0.5, v64
	v_sub_f32_e32 v71, v102, v128
	v_add_f32_e32 v65, v7, v128
	v_fmamk_f32 v67, v68, 0xbf5db3d7, v80
	v_add_f32_e32 v61, v56, v116
	v_dual_sub_f32 v56, v113, v116 :: v_dual_add_f32 v7, v104, v130
	v_dual_add_f32 v66, v81, v129 :: v_dual_add_f32 v73, v84, v132
	v_fmac_f32_e32 v80, 0x3f5db3d7, v68
	s_delay_alu instid0(VALU_DEP_3) | instskip(SKIP_3) | instid1(VALU_DEP_3)
	v_fmamk_f32 v64, v56, 0x3f5db3d7, v79
	v_dual_fmac_f32 v79, 0xbf5db3d7, v56 :: v_dual_add_f32 v56, v129, v105
	v_dual_add_f32 v68, v83, v131 :: v_dual_fmac_f32 v83, -0.5, v72
	v_dual_add_f32 v86, v90, v92 :: v_dual_add_f32 v55, v55, v117
	v_fmac_f32_e32 v81, -0.5, v56
	v_add_f32_e32 v56, v82, v104
	v_fma_f32 v82, -0.5, v7, v82
	v_sub_f32_e32 v7, v131, v91
	v_add_f32_e32 v70, v68, v91
	s_delay_alu instid0(VALU_DEP_4) | instskip(SKIP_1) | instid1(VALU_DEP_4)
	v_dual_fmamk_f32 v68, v71, 0x3f5db3d7, v81 :: v_dual_add_f32 v69, v56, v130
	v_dual_sub_f32 v56, v104, v130 :: v_dual_fmac_f32 v81, 0xbf5db3d7, v71
	v_dual_add_f32 v66, v66, v105 :: v_dual_fmamk_f32 v71, v7, 0xbf5db3d7, v82
	s_delay_alu instid0(VALU_DEP_2) | instskip(SKIP_3) | instid1(VALU_DEP_3)
	v_fmamk_f32 v72, v56, 0x3f5db3d7, v83
	v_dual_fmac_f32 v83, 0xbf5db3d7, v56 :: v_dual_add_f32 v56, v85, v90
	v_dual_fmac_f32 v85, -0.5, v86 :: v_dual_fmac_f32 v82, 0x3f5db3d7, v7
	v_add_f32_e32 v7, v132, v133
	v_add_f32_e32 v77, v56, v92
	v_mul_u32_u24_e32 v56, 0x2d0, v50
	s_delay_alu instid0(VALU_DEP_3) | instskip(SKIP_1) | instid1(VALU_DEP_3)
	v_fma_f32 v84, -0.5, v7, v84
	v_sub_f32_e32 v7, v90, v92
	v_add3_u32 v53, 0, v56, v53
	v_mul_u32_u24_e32 v56, 0x2d0, v51
	s_delay_alu instid0(VALU_DEP_3)
	v_fmamk_f32 v50, v7, 0xbf5db3d7, v84
	v_dual_fmac_f32 v84, 0x3f5db3d7, v7 :: v_dual_sub_f32 v7, v132, v133
	ds_store_2addr_b64 v53, v[54:55], v[59:60] offset1:30
	v_lshrrev_b32_e32 v54, 20, v0
	v_mul_u32_u24_e32 v0, 0x2d83, v3
	v_fmamk_f32 v51, v7, 0x3f5db3d7, v85
	v_fmac_f32_e32 v85, 0xbf5db3d7, v7
	v_add3_u32 v7, 0, v56, v57
	v_lshrrev_b16 v56, 14, v1
	v_mul_u32_u24_e32 v1, 0x2d0, v5
	v_lshlrev_b32_e32 v5, 3, v49
	ds_store_b64 v53, v[74:75] offset:480
	ds_store_2addr_b64 v7, v[61:62], v[63:64] offset1:30
	ds_store_b64 v7, v[78:79] offset:480
	ds_store_2addr_b64 v52, v[65:66], v[67:68] offset1:30
	v_lshrrev_b32_e32 v53, 20, v2
	v_mul_lo_u16 v7, 0x5a, v56
	ds_store_b64 v52, v[80:81] offset:480
	v_add3_u32 v1, 0, v1, v5
	ds_store_2addr_b64 v1, v[69:70], v[71:72] offset1:30
	ds_store_b64 v1, v[82:83] offset:480
	v_mul_lo_u16 v1, 0x5a, v53
	v_sub_nc_u16 v2, v39, v7
	v_lshrrev_b32_e32 v49, 20, v0
	v_mul_lo_u16 v3, 0x5a, v54
	v_mul_u32_u24_e32 v53, 0x870, v53
	v_sub_nc_u16 v1, v38, v1
	v_and_b32_e32 v61, 0xff, v2
	v_mul_lo_u16 v0, 0x5a, v49
	v_mul_u32_u24_e32 v49, 0x870, v49
	v_and_b32_e32 v56, 0xffff, v56
	v_and_b32_e32 v63, 0xffff, v1
	v_add_f32_e32 v76, v73, v133
	v_lshlrev_b32_e32 v2, 4, v61
	v_sub_nc_u16 v0, v36, v0
	v_mul_u32_u24_e32 v56, 0x870, v56
	v_lshlrev_b32_e32 v1, 4, v63
	ds_store_2addr_b64 v4, v[76:77], v[50:51] offset1:30
	ds_store_b64 v4, v[84:85] offset:480
	global_wb scope:SCOPE_SE
	s_wait_dscnt 0x0
	s_barrier_signal -1
	s_barrier_wait -1
	global_inv scope:SCOPE_SE
	s_clause 0x1
	global_load_b128 v[4:7], v2, s[8:9] offset:640
	global_load_b128 v[64:67], v1, s[8:9] offset:640
	v_sub_nc_u16 v2, v37, v3
	v_mul_u32_u24_e32 v3, 0x2d83, v8
	v_and_b32_e32 v51, 0xffff, v0
	v_mul_u32_u24_e32 v0, 0x2d83, v10
	v_mul_u32_u24_e32 v8, 0x795d, v8
	v_and_b32_e32 v62, 0xffff, v2
	v_lshrrev_b32_e32 v50, 20, v3
	v_lshlrev_b32_e32 v3, 4, v51
	v_lshrrev_b32_e32 v52, 20, v0
	s_delay_alu instid0(VALU_DEP_4) | instskip(NEXT) | instid1(VALU_DEP_4)
	v_lshlrev_b32_e32 v1, 4, v62
	v_mul_lo_u16 v2, 0x5a, v50
	global_load_b128 v[72:75], v3, s[8:9] offset:640
	v_mul_u32_u24_e32 v50, 0x870, v50
	global_load_b128 v[68:71], v1, s[8:9] offset:640
	v_sub_nc_u16 v0, v35, v2
	v_mul_lo_u16 v2, 0x5a, v52
	s_delay_alu instid0(VALU_DEP_2) | instskip(NEXT) | instid1(VALU_DEP_2)
	v_and_b32_e32 v58, 0xffff, v0
	v_sub_nc_u16 v0, v34, v2
	v_mul_u32_u24_e32 v2, 0x2d83, v11
	s_delay_alu instid0(VALU_DEP_2) | instskip(NEXT) | instid1(VALU_DEP_2)
	v_and_b32_e32 v60, 0xffff, v0
	v_lshrrev_b32_e32 v0, 20, v2
	s_delay_alu instid0(VALU_DEP_2) | instskip(NEXT) | instid1(VALU_DEP_2)
	v_lshlrev_b32_e32 v2, 4, v60
	v_mul_lo_u16 v0, 0x5a, v0
	global_load_b128 v[80:83], v2, s[8:9] offset:640
	v_mul_u32_u24_e32 v1, 0x2d83, v9
	v_sub_nc_u16 v0, v32, v0
	v_add_nc_u32_e32 v2, -9, v24
	v_mul_u32_u24_e32 v9, 0x795d, v9
	s_delay_alu instid0(VALU_DEP_4)
	v_lshrrev_b32_e32 v55, 20, v1
	v_lshlrev_b32_e32 v1, 4, v58
	v_and_b32_e32 v57, 0xffff, v0
	v_lshlrev_b32_e32 v0, 1, v24
	s_wait_alu 0xf1ff
	v_cndmask_b32_e64 v116, v2, v28, s0
	global_load_b128 v[76:79], v1, s[8:9] offset:640
	v_mul_lo_u16 v3, 0x5a, v55
	v_lshlrev_b32_e32 v88, 4, v57
	v_lshlrev_b32_e32 v92, 1, v116
	v_mul_u32_u24_e32 v55, 0x870, v55
	s_delay_alu instid0(VALU_DEP_4) | instskip(SKIP_2) | instid1(VALU_DEP_1)
	v_sub_nc_u16 v1, v33, v3
	global_load_b128 v[88:91], v88, s[8:9] offset:640
	v_and_b32_e32 v59, 0xffff, v1
	v_lshlrev_b32_e32 v1, 4, v59
	global_load_b128 v[84:87], v1, s[8:9] offset:640
	v_mov_b32_e32 v1, 0
	s_delay_alu instid0(VALU_DEP_1) | instskip(SKIP_1) | instid1(VALU_DEP_1)
	v_lshlrev_b64_e32 v[2:3], 3, v[0:1]
	v_mov_b32_e32 v93, v1
	v_lshlrev_b64_e32 v[96:97], 3, v[92:93]
	s_delay_alu instid0(VALU_DEP_3) | instskip(SKIP_1) | instid1(VALU_DEP_4)
	v_add_co_u32 v2, s0, s8, v2
	s_wait_alu 0xf1ff
	v_add_co_ci_u32_e64 v3, s0, s9, v3, s0
	s_delay_alu instid0(VALU_DEP_3)
	v_add_co_u32 v96, s0, s8, v96
	global_load_b128 v[92:95], v[2:3], off offset:640
	s_wait_alu 0xf1ff
	v_add_co_ci_u32_e64 v97, s0, s9, v97, s0
	v_cmp_lt_u32_e64 s0, 8, v24
	global_load_b128 v[96:99], v[96:97], off offset:640
	ds_load_2addr_b64 v[100:103], v42 offset0:76 offset1:157
	ds_load_2addr_b64 v[104:107], v17 offset0:118 offset1:199
	;; [unrolled: 1-line block ×4, first 2 shown]
	s_wait_loadcnt_dscnt 0x902
	v_mul_f32_e32 v118, v105, v7
	v_mul_f32_e32 v7, v104, v7
	;; [unrolled: 1-line block ×4, first 2 shown]
	s_wait_loadcnt 0x8
	v_mul_f32_e32 v120, v103, v65
	v_fmac_f32_e32 v118, v104, v6
	v_fma_f32 v104, v105, v6, -v7
	v_mul_f32_e32 v105, v107, v67
	v_mul_f32_e32 v67, v106, v67
	v_fmac_f32_e32 v117, v100, v4
	v_fma_f32 v119, v101, v4, -v5
	v_mul_f32_e32 v65, v102, v65
	v_fmac_f32_e32 v105, v106, v66
	v_fma_f32 v106, v107, v66, -v67
	ds_load_2addr_b64 v[4:7], v12 offset0:16 offset1:97
	v_fmac_f32_e32 v120, v102, v64
	v_fma_f32 v121, v103, v64, -v65
	s_wait_loadcnt_dscnt 0x602
	v_mul_f32_e32 v107, v109, v69
	s_wait_dscnt 0x1
	v_dual_mul_f32 v69, v108, v69 :: v_dual_mul_f32 v122, v113, v71
	ds_load_2addr_b64 v[64:67], v20 offset0:58 offset1:139
	ds_load_2addr_b64 v[100:103], v16 offset0:92 offset1:173
	v_dual_fmac_f32 v107, v108, v68 :: v_dual_mul_f32 v108, v111, v73
	v_dual_fmac_f32 v122, v112, v70 :: v_dual_mul_f32 v73, v110, v73
	v_lshlrev_b32_e32 v61, 3, v61
	v_lshlrev_b32_e32 v62, 3, v62
	s_delay_alu instid0(VALU_DEP_4)
	v_fmac_f32_e32 v108, v110, v72
	v_mul_f32_e32 v110, v115, v75
	v_mul_f32_e32 v71, v112, v71
	v_fma_f32 v109, v109, v68, -v69
	v_mul_f32_e32 v75, v114, v75
	v_fma_f32 v111, v111, v72, -v73
	v_fmac_f32_e32 v110, v114, v74
	v_fma_f32 v112, v113, v70, -v71
	ds_load_2addr_b64 v[68:71], v29 offset0:50 offset1:131
	v_add3_u32 v56, 0, v56, v61
	v_add_f32_e32 v61, v120, v105
	s_wait_loadcnt_dscnt 0x503
	v_mul_f32_e32 v123, v7, v81
	s_wait_dscnt 0x2
	v_mul_f32_e32 v126, v67, v83
	v_lshlrev_b32_e32 v63, 3, v63
	v_lshlrev_b32_e32 v51, 3, v51
	;; [unrolled: 1-line block ×3, first 2 shown]
	s_delay_alu instid0(VALU_DEP_4) | instskip(NEXT) | instid1(VALU_DEP_3)
	v_fmac_f32_e32 v126, v66, v82
	v_add3_u32 v49, 0, v49, v51
	v_mul_u32_u24_e32 v51, 0x870, v52
	v_lshlrev_b32_e32 v52, 3, v60
	v_add3_u32 v50, 0, v50, v58
	s_wait_loadcnt 0x4
	v_mul_f32_e32 v113, v5, v77
	v_mul_f32_e32 v72, v4, v77
	v_fma_f32 v114, v115, v74, -v75
	v_mul_f32_e32 v115, v65, v79
	s_delay_alu instid0(VALU_DEP_4) | instskip(SKIP_4) | instid1(VALU_DEP_3)
	v_fmac_f32_e32 v113, v4, v76
	v_mul_f32_e32 v4, v64, v79
	v_fma_f32 v124, v5, v76, -v72
	s_wait_loadcnt_dscnt 0x300
	v_dual_fmac_f32 v115, v64, v78 :: v_dual_mul_f32 v76, v70, v89
	v_fma_f32 v125, v65, v78, -v4
	v_mul_f32_e32 v4, v66, v83
	ds_load_b64 v[64:65], v41 offset:6480
	v_fmac_f32_e32 v123, v6, v80
	v_fma_f32 v130, v67, v82, -v4
	s_wait_loadcnt 0x2
	v_mul_f32_e32 v66, v68, v85
	v_mul_f32_e32 v128, v69, v85
	;; [unrolled: 1-line block ×4, first 2 shown]
	s_delay_alu instid0(VALU_DEP_4) | instskip(NEXT) | instid1(VALU_DEP_4)
	v_fma_f32 v131, v69, v84, -v66
	v_fmac_f32_e32 v128, v68, v84
	s_delay_alu instid0(VALU_DEP_4)
	v_fma_f32 v127, v7, v80, -v5
	ds_load_2addr_b64 v[4:7], v44 offset0:84 offset1:165
	v_fmac_f32_e32 v129, v100, v86
	v_mul_f32_e32 v68, v100, v87
	v_mul_f32_e32 v100, v71, v89
	ds_load_2addr_b32 v[66:67], v15 offset0:246 offset1:247
	v_dual_mul_f32 v89, v103, v91 :: v_dual_fmac_f32 v100, v70, v88
	v_mul_f32_e32 v70, v102, v91
	v_fma_f32 v88, v71, v88, -v76
	s_delay_alu instid0(VALU_DEP_3)
	v_fmac_f32_e32 v89, v102, v90
	s_wait_loadcnt_dscnt 0x102
	v_mul_f32_e32 v77, v93, v65
	v_fma_f32 v101, v101, v86, -v68
	ds_load_b64 v[68:69], v46
	ds_load_b64 v[72:73], v18
	;; [unrolled: 1-line block ×3, first 2 shown]
	v_mul_f32_e32 v71, v93, v64
	v_fma_f32 v90, v103, v90, -v70
	s_wait_loadcnt_dscnt 0x4
	v_dual_fmac_f32 v77, v92, v64 :: v_dual_mul_f32 v84, v7, v99
	v_mul_f32_e32 v70, v95, v5
	v_fma_f32 v71, v92, v65, -v71
	v_dual_mul_f32 v64, v95, v4 :: v_dual_mul_f32 v65, v6, v99
	s_wait_dscnt 0x3
	s_delay_alu instid0(VALU_DEP_3) | instskip(SKIP_1) | instid1(VALU_DEP_3)
	v_dual_mul_f32 v85, v67, v97 :: v_dual_fmac_f32 v70, v94, v4
	v_fmac_f32_e32 v84, v6, v98
	v_fma_f32 v4, v94, v5, -v64
	v_fma_f32 v86, v7, v98, -v65
	ds_load_b64 v[64:65], v47
	v_mul_f32_e32 v6, v97, v66
	v_add_f32_e32 v5, v77, v70
	v_dual_sub_f32 v91, v77, v70 :: v_dual_lshlrev_b32 v94, 3, v116
	s_wait_dscnt 0x1
	v_add_f32_e32 v7, v74, v77
	v_fma_f32 v92, v67, v96, -v6
	v_sub_f32_e32 v87, v71, v4
	v_dual_fmac_f32 v85, v96, v66 :: v_dual_add_f32 v66, v71, v4
	v_fma_f32 v74, -0.5, v5, v74
	v_add_f32_e32 v5, v75, v71
	s_wait_alu 0xf1ff
	v_cndmask_b32_e64 v95, 0, 0x870, s0
	v_cmp_gt_u32_e64 s0, 27, v24
	v_fmac_f32_e32 v75, -0.5, v66
	v_dual_add_f32 v66, v7, v70 :: v_dual_add_f32 v67, v5, v4
	v_dual_fmamk_f32 v70, v87, 0xbf5db3d7, v74 :: v_dual_add_f32 v93, v85, v84
	s_delay_alu instid0(VALU_DEP_3)
	v_dual_fmac_f32 v74, 0x3f5db3d7, v87 :: v_dual_fmamk_f32 v71, v91, 0x3f5db3d7, v75
	s_wait_dscnt 0x0
	v_add_f32_e32 v87, v64, v85
	v_fmac_f32_e32 v75, 0xbf5db3d7, v91
	v_add_f32_e32 v91, v92, v86
	ds_load_b64 v[76:77], v48
	ds_load_b64 v[78:79], v45
	;; [unrolled: 1-line block ×6, first 2 shown]
	v_fma_f32 v64, -0.5, v93, v64
	v_dual_add_f32 v93, v65, v92 :: v_dual_sub_f32 v92, v92, v86
	v_fmac_f32_e32 v65, -0.5, v91
	v_sub_f32_e32 v91, v85, v84
	global_wb scope:SCOPE_SE
	s_wait_dscnt 0x0
	v_add_f32_e32 v85, v93, v86
	v_add3_u32 v93, 0, v95, v94
	v_fmamk_f32 v86, v92, 0xbf5db3d7, v64
	v_fmac_f32_e32 v64, 0x3f5db3d7, v92
	v_add_f32_e32 v84, v87, v84
	v_fmamk_f32 v87, v91, 0x3f5db3d7, v65
	s_barrier_signal -1
	s_barrier_wait -1
	global_inv scope:SCOPE_SE
	ds_store_2addr_b64 v41, v[66:67], v[70:71] offset1:90
	ds_store_b64 v41, v[74:75] offset:1440
	ds_store_2addr_b64 v93, v[84:85], v[86:87] offset1:90
	v_add_f32_e32 v70, v77, v119
	v_add_f32_e32 v66, v117, v118
	v_dual_sub_f32 v74, v119, v104 :: v_dual_add_f32 v67, v76, v117
	v_sub_f32_e32 v75, v117, v118
	v_sub_f32_e32 v85, v88, v90
	s_delay_alu instid0(VALU_DEP_4) | instskip(SKIP_2) | instid1(VALU_DEP_2)
	v_fma_f32 v76, -0.5, v66, v76
	v_add_f32_e32 v66, v119, v104
	v_add_f32_e32 v84, v88, v90
	v_fmac_f32_e32 v77, -0.5, v66
	v_dual_add_f32 v66, v67, v118 :: v_dual_add_f32 v67, v70, v104
	v_dual_fmamk_f32 v70, v74, 0xbf5db3d7, v76 :: v_dual_fmac_f32 v65, 0xbf5db3d7, v91
	s_delay_alu instid0(VALU_DEP_3)
	v_fmamk_f32 v71, v75, 0x3f5db3d7, v77
	ds_store_b64 v93, v[64:65] offset:1440
	ds_store_2addr_b64 v56, v[66:67], v[70:71] offset1:90
	v_add_f32_e32 v64, v68, v120
	v_fmac_f32_e32 v76, 0x3f5db3d7, v74
	v_fma_f32 v68, -0.5, v61, v68
	v_sub_f32_e32 v70, v121, v106
	v_sub_f32_e32 v74, v107, v122
	v_dual_add_f32 v64, v64, v105 :: v_dual_fmac_f32 v77, 0xbf5db3d7, v75
	v_mul_u32_u24_e32 v71, 0x870, v54
	s_delay_alu instid0(VALU_DEP_4)
	v_fmamk_f32 v66, v70, 0xbf5db3d7, v68
	v_fmac_f32_e32 v68, 0x3f5db3d7, v70
	v_sub_f32_e32 v70, v109, v112
	ds_store_b64 v56, v[76:77] offset:1440
	v_add_f32_e32 v56, v69, v121
	v_sub_f32_e32 v75, v131, v101
	v_add_f32_e32 v77, v4, v100
	s_delay_alu instid0(VALU_DEP_3) | instskip(SKIP_4) | instid1(VALU_DEP_2)
	v_add_f32_e32 v65, v56, v106
	v_add3_u32 v56, 0, v53, v63
	v_add_f32_e32 v63, v73, v109
	v_add_f32_e32 v61, v121, v106
	;; [unrolled: 1-line block ×3, first 2 shown]
	v_dual_add_f32 v54, v63, v112 :: v_dual_fmac_f32 v69, -0.5, v61
	v_sub_f32_e32 v61, v120, v105
	v_add3_u32 v63, 0, v71, v62
	v_sub_f32_e32 v71, v127, v130
	s_delay_alu instid0(VALU_DEP_3) | instskip(SKIP_4) | instid1(VALU_DEP_1)
	v_fmamk_f32 v67, v61, 0x3f5db3d7, v69
	v_fmac_f32_e32 v69, 0xbf5db3d7, v61
	v_add_f32_e32 v61, v72, v107
	v_fma_f32 v72, -0.5, v53, v72
	v_add_f32_e32 v53, v109, v112
	v_fmac_f32_e32 v73, -0.5, v53
	s_delay_alu instid0(VALU_DEP_4) | instskip(NEXT) | instid1(VALU_DEP_4)
	v_add_f32_e32 v53, v61, v122
	v_fmamk_f32 v61, v70, 0xbf5db3d7, v72
	v_fmac_f32_e32 v72, 0x3f5db3d7, v70
	v_add_f32_e32 v70, v82, v123
	v_fmamk_f32 v62, v74, 0x3f5db3d7, v73
	ds_store_2addr_b64 v56, v[64:65], v[66:67] offset1:90
	ds_store_b64 v56, v[68:69] offset:1440
	ds_store_2addr_b64 v63, v[53:54], v[61:62] offset1:90
	v_dual_add_f32 v56, v111, v114 :: v_dual_sub_f32 v67, v124, v125
	v_dual_add_f32 v53, v108, v110 :: v_dual_add_f32 v54, v79, v111
	v_dual_add_f32 v61, v78, v108 :: v_dual_sub_f32 v62, v111, v114
	s_delay_alu instid0(VALU_DEP_3) | instskip(NEXT) | instid1(VALU_DEP_3)
	v_fmac_f32_e32 v79, -0.5, v56
	v_fma_f32 v78, -0.5, v53, v78
	v_sub_f32_e32 v56, v108, v110
	s_delay_alu instid0(VALU_DEP_4) | instskip(SKIP_1) | instid1(VALU_DEP_4)
	v_add_f32_e32 v53, v61, v110
	v_add_f32_e32 v65, v124, v125
	v_dual_add_f32 v66, v80, v113 :: v_dual_fmamk_f32 v61, v62, 0xbf5db3d7, v78
	v_fmac_f32_e32 v78, 0x3f5db3d7, v62
	v_fmamk_f32 v62, v56, 0x3f5db3d7, v79
	v_fmac_f32_e32 v79, 0xbf5db3d7, v56
	v_dual_add_f32 v56, v81, v124 :: v_dual_fmac_f32 v73, 0xbf5db3d7, v74
	v_fmac_f32_e32 v81, -0.5, v65
	v_dual_add_f32 v69, v127, v130 :: v_dual_add_f32 v74, v6, v128
	s_delay_alu instid0(VALU_DEP_3) | instskip(SKIP_4) | instid1(VALU_DEP_2)
	v_add_f32_e32 v64, v56, v125
	v_sub_f32_e32 v56, v113, v115
	ds_store_b64 v63, v[72:73] offset:1440
	v_add_f32_e32 v63, v113, v115
	v_dual_add_f32 v73, v131, v101 :: v_dual_add_f32 v54, v54, v114
	v_fma_f32 v80, -0.5, v63, v80
	v_dual_add_f32 v63, v66, v115 :: v_dual_fmamk_f32 v66, v56, 0x3f5db3d7, v81
	v_dual_fmac_f32 v81, 0xbf5db3d7, v56 :: v_dual_add_f32 v56, v83, v127
	s_delay_alu instid0(VALU_DEP_3) | instskip(SKIP_1) | instid1(VALU_DEP_3)
	v_fmamk_f32 v65, v67, 0xbf5db3d7, v80
	v_dual_fmac_f32 v80, 0x3f5db3d7, v67 :: v_dual_add_f32 v67, v123, v126
	v_dual_fmac_f32 v83, -0.5, v69 :: v_dual_add_f32 v68, v56, v130
	v_sub_f32_e32 v56, v123, v126
	s_delay_alu instid0(VALU_DEP_3) | instskip(NEXT) | instid1(VALU_DEP_2)
	v_fma_f32 v82, -0.5, v67, v82
	v_dual_add_f32 v67, v70, v126 :: v_dual_fmamk_f32 v70, v56, 0x3f5db3d7, v83
	v_fmac_f32_e32 v83, 0xbf5db3d7, v56
	s_delay_alu instid0(VALU_DEP_3)
	v_fmamk_f32 v69, v71, 0xbf5db3d7, v82
	v_dual_fmac_f32 v82, 0x3f5db3d7, v71 :: v_dual_add_f32 v71, v128, v129
	v_dual_add_f32 v56, v7, v131 :: v_dual_fmac_f32 v7, -0.5, v73
	ds_store_2addr_b64 v49, v[53:54], v[61:62] offset1:90
	ds_store_b64 v49, v[78:79] offset:1440
	v_add3_u32 v49, 0, v51, v52
	v_fma_f32 v6, -0.5, v71, v6
	v_add_f32_e32 v72, v56, v101
	v_sub_f32_e32 v56, v128, v129
	v_dual_add_f32 v71, v74, v129 :: v_dual_mov_b32 v52, v1
	s_delay_alu instid0(VALU_DEP_4) | instskip(SKIP_1) | instid1(VALU_DEP_4)
	v_fmamk_f32 v73, v75, 0xbf5db3d7, v6
	v_dual_fmac_f32 v6, 0x3f5db3d7, v75 :: v_dual_add_f32 v75, v100, v89
	v_fmamk_f32 v74, v56, 0x3f5db3d7, v7
	v_fmac_f32_e32 v7, 0xbf5db3d7, v56
	v_add_f32_e32 v56, v5, v88
	v_fmac_f32_e32 v5, -0.5, v84
	v_fma_f32 v4, -0.5, v75, v4
	ds_store_2addr_b64 v50, v[63:64], v[65:66] offset1:90
	v_dual_add_f32 v76, v56, v90 :: v_dual_lshlrev_b32 v51, 1, v39
	v_sub_f32_e32 v56, v100, v89
	v_fmamk_f32 v84, v85, 0xbf5db3d7, v4
	v_fmac_f32_e32 v4, 0x3f5db3d7, v85
	v_lshl_add_u32 v53, v57, 3, 0
	v_add_f32_e32 v75, v77, v89
	v_fmamk_f32 v85, v56, 0x3f5db3d7, v5
	v_dual_fmac_f32 v5, 0xbf5db3d7, v56 :: v_dual_lshlrev_b32 v56, 3, v59
	ds_store_b64 v50, v[80:81] offset:1440
	ds_store_2addr_b64 v49, v[67:68], v[69:70] offset1:90
	ds_store_b64 v49, v[82:83] offset:1440
	v_subrev_nc_u32_e32 v50, 27, v24
	v_add_nc_u32_e32 v49, 0x4000, v53
	v_add3_u32 v54, 0, v55, v56
	ds_store_2addr_b64 v54, v[71:72], v[73:74] offset1:90
	ds_store_b64 v54, v[6:7] offset:1440
	s_wait_alu 0xf1ff
	v_cndmask_b32_e64 v50, v50, v38, s0
	v_lshlrev_b64_e32 v[6:7], 3, v[51:52]
	ds_store_b64 v53, v[4:5] offset:18720
	ds_store_2addr_b64 v49, v[75:76], v[84:85] offset0:112 offset1:202
	v_lshrrev_b32_e32 v49, 23, v8
	v_lshlrev_b32_e32 v51, 1, v50
	global_wb scope:SCOPE_SE
	s_wait_dscnt 0x0
	v_add_co_u32 v4, s0, s8, v6
	s_wait_alu 0xf1ff
	v_add_co_ci_u32_e64 v5, s0, s9, v7, s0
	v_lshlrev_b64_e32 v[6:7], 3, v[51:52]
	v_add_nc_u32_e32 v51, 0x6c, v0
	v_add_nc_u32_e32 v0, 0x10e, v0
	s_barrier_signal -1
	s_barrier_wait -1
	global_inv scope:SCOPE_SE
	v_add_co_u32 v6, s0, s8, v6
	v_lshlrev_b64_e32 v[51:52], 3, v[51:52]
	s_wait_alu 0xf1ff
	v_add_co_ci_u32_e64 v7, s0, s9, v7, s0
	v_mul_u32_u24_e32 v8, 0x795d, v10
	v_mul_lo_u16 v10, 0x10e, v49
	s_clause 0x2
	global_load_b128 v[54:57], v[4:5], off offset:2080
	global_load_b128 v[82:85], v[2:3], off offset:2080
	;; [unrolled: 1-line block ×3, first 2 shown]
	v_add_co_u32 v6, s0, s8, v51
	s_wait_alu 0xf1ff
	v_add_co_ci_u32_e64 v7, s0, s9, v52, s0
	v_lshlrev_b64_e32 v[51:52], 3, v[0:1]
	v_lshrrev_b32_e32 v0, 23, v8
	v_sub_nc_u16 v8, v35, v10
	global_load_b128 v[62:65], v[6:7], off offset:2080
	v_lshlrev_b32_e32 v50, 3, v50
	v_add_co_u32 v6, s0, s8, v51
	s_wait_alu 0xf1ff
	v_add_co_ci_u32_e64 v7, s0, s9, v52, s0
	v_mul_lo_u16 v10, 0x10e, v0
	v_and_b32_e32 v0, 0xffff, v8
	v_lshrrev_b32_e32 v8, 23, v9
	global_load_b128 v[66:69], v[6:7], off offset:2080
	v_mul_u32_u24_e32 v7, 0x795d, v11
	v_sub_nc_u16 v6, v34, v10
	v_lshlrev_b32_e32 v9, 4, v0
	v_mul_lo_u16 v8, 0x10e, v8
	v_lshlrev_b32_e32 v0, 3, v0
	s_delay_alu instid0(VALU_DEP_4) | instskip(SKIP_1) | instid1(VALU_DEP_4)
	v_and_b32_e32 v53, 0xffff, v6
	v_lshrrev_b32_e32 v6, 23, v7
	v_sub_nc_u16 v7, v33, v8
	global_load_b128 v[8:11], v9, s[8:9] offset:2080
	v_lshlrev_b32_e32 v51, 4, v53
	v_mul_lo_u16 v6, 0x10e, v6
	v_and_b32_e32 v52, 0xffff, v7
	global_load_b128 v[70:73], v51, s[8:9] offset:2080
	v_sub_nc_u16 v6, v32, v6
	v_lshlrev_b32_e32 v7, 4, v52
	v_lshl_add_u32 v52, v52, 3, 0
	global_load_b128 v[74:77], v7, s[8:9] offset:2080
	v_and_b32_e32 v51, 0xffff, v6
	s_delay_alu instid0(VALU_DEP_1) | instskip(SKIP_2) | instid1(VALU_DEP_1)
	v_lshlrev_b32_e32 v6, 4, v51
	global_load_b128 v[78:81], v6, s[8:9] offset:2080
	v_dual_mov_b32 v7, v1 :: v_dual_lshlrev_b32 v6, 1, v28
	v_lshlrev_b64_e32 v[6:7], 3, v[6:7]
	s_delay_alu instid0(VALU_DEP_1) | instskip(SKIP_1) | instid1(VALU_DEP_2)
	v_add_co_u32 v6, s0, s8, v6
	s_wait_alu 0xf1ff
	v_add_co_ci_u32_e64 v7, s0, s9, v7, s0
	v_cmp_lt_u32_e64 s0, 26, v24
	global_load_b128 v[86:89], v[6:7], off offset:2080
	ds_load_2addr_b64 v[90:93], v42 offset0:76 offset1:157
	ds_load_2addr_b64 v[94:97], v17 offset0:118 offset1:199
	;; [unrolled: 1-line block ×4, first 2 shown]
	s_wait_loadcnt_dscnt 0x903
	v_mul_f32_e32 v106, v91, v55
	v_mul_f32_e32 v55, v90, v55
	s_wait_dscnt 0x2
	v_mul_f32_e32 v107, v95, v57
	v_mul_f32_e32 v57, v94, v57
	s_wait_loadcnt 0x7
	v_dual_mul_f32 v109, v97, v61 :: v_dual_fmac_f32 v106, v90, v54
	v_fma_f32 v108, v91, v54, -v55
	v_dual_fmac_f32 v107, v94, v56 :: v_dual_mul_f32 v94, v93, v59
	v_mul_f32_e32 v54, v92, v59
	v_mul_f32_e32 v59, v96, v61
	s_wait_loadcnt_dscnt 0x601
	v_dual_fmac_f32 v109, v96, v60 :: v_dual_mul_f32 v96, v99, v63
	v_fmac_f32_e32 v94, v92, v58
	v_fma_f32 v110, v93, v58, -v54
	s_wait_dscnt 0x0
	v_dual_mul_f32 v58, v98, v63 :: v_dual_mul_f32 v111, v103, v65
	v_fma_f32 v97, v97, v60, -v59
	v_mul_f32_e32 v59, v102, v65
	v_fmac_f32_e32 v96, v98, v62
	s_delay_alu instid0(VALU_DEP_4)
	v_fma_f32 v98, v99, v62, -v58
	s_wait_loadcnt 0x5
	v_mul_f32_e32 v99, v101, v67
	v_dual_mul_f32 v62, v100, v67 :: v_dual_fmac_f32 v111, v102, v64
	v_fma_f32 v102, v103, v64, -v59
	ds_load_2addr_b64 v[90:93], v20 offset0:58 offset1:139
	v_fmac_f32_e32 v99, v100, v66
	v_fma_f32 v100, v101, v66, -v62
	ds_load_2addr_b64 v[62:65], v16 offset0:92 offset1:173
	v_mul_f32_e32 v103, v105, v69
	v_mul_f32_e32 v67, v104, v69
	ds_load_2addr_b64 v[58:61], v29 offset0:50 offset1:131
	v_fmac_f32_e32 v103, v104, v68
	v_fma_f32 v104, v105, v68, -v67
	s_wait_loadcnt_dscnt 0x402
	v_mul_f32_e32 v105, v91, v11
	v_mul_f32_e32 v11, v90, v11
	s_delay_alu instid0(VALU_DEP_2) | instskip(NEXT) | instid1(VALU_DEP_2)
	v_fmac_f32_e32 v105, v90, v10
	v_fma_f32 v90, v91, v10, -v11
	s_wait_loadcnt 0x3
	v_mul_f32_e32 v91, v93, v73
	s_wait_loadcnt_dscnt 0x100
	v_dual_mul_f32 v115, v59, v75 :: v_dual_mul_f32 v118, v65, v81
	v_mul_f32_e32 v117, v61, v79
	v_mul_f32_e32 v68, v60, v79
	s_delay_alu instid0(VALU_DEP_3)
	v_fmac_f32_e32 v118, v64, v80
	v_fma_f32 v95, v95, v56, -v57
	ds_load_2addr_b64 v[54:57], v12 offset0:16 offset1:97
	v_fmac_f32_e32 v117, v60, v78
	v_mul_f32_e32 v60, v64, v81
	v_fmac_f32_e32 v91, v92, v72
	v_fma_f32 v81, v61, v78, -v68
	s_delay_alu instid0(VALU_DEP_3) | instskip(SKIP_3) | instid1(VALU_DEP_2)
	v_fma_f32 v119, v65, v80, -v60
	s_wait_dscnt 0x0
	v_mul_f32_e32 v101, v55, v9
	v_dual_mul_f32 v9, v54, v9 :: v_dual_mul_f32 v112, v57, v71
	v_fmac_f32_e32 v101, v54, v8
	s_delay_alu instid0(VALU_DEP_2)
	v_fma_f32 v113, v55, v8, -v9
	v_mul_f32_e32 v8, v56, v71
	ds_load_b64 v[54:55], v41 offset:6480
	v_fmac_f32_e32 v112, v56, v70
	v_mul_f32_e32 v56, v58, v75
	v_fma_f32 v114, v57, v70, -v8
	v_mul_f32_e32 v8, v92, v73
	v_mul_f32_e32 v92, v63, v77
	s_delay_alu instid0(VALU_DEP_4)
	v_fma_f32 v116, v59, v74, -v56
	ds_load_2addr_b32 v[56:57], v15 offset0:246 offset1:247
	v_lshl_add_u32 v53, v53, 3, 0
	v_fma_f32 v93, v93, v72, -v8
	ds_load_2addr_b64 v[8:11], v44 offset0:84 offset1:165
	v_fmac_f32_e32 v92, v62, v76
	v_lshl_add_u32 v51, v51, 3, 0
	s_wait_dscnt 0x2
	v_mul_f32_e32 v69, v83, v55
	v_mul_f32_e32 v61, v83, v54
	s_delay_alu instid0(VALU_DEP_2) | instskip(NEXT) | instid1(VALU_DEP_2)
	v_fmac_f32_e32 v69, v82, v54
	v_fma_f32 v54, v82, v55, -v61
	s_wait_loadcnt_dscnt 0x0
	v_mul_f32_e32 v75, v11, v89
	s_delay_alu instid0(VALU_DEP_1) | instskip(SKIP_2) | instid1(VALU_DEP_3)
	v_dual_mul_f32 v60, v85, v9 :: v_dual_fmac_f32 v75, v10, v88
	v_fmac_f32_e32 v115, v58, v74
	v_dual_mul_f32 v58, v62, v77 :: v_dual_mul_f32 v55, v85, v8
	v_dual_fmac_f32 v60, v84, v8 :: v_dual_add_f32 v85, v81, v119
	s_delay_alu instid0(VALU_DEP_2)
	v_fma_f32 v79, v63, v76, -v58
	ds_load_b64 v[58:59], v46
	ds_load_b64 v[62:63], v18
	;; [unrolled: 1-line block ×3, first 2 shown]
	v_dual_mul_f32 v61, v10, v89 :: v_dual_mul_f32 v76, v57, v87
	v_fma_f32 v8, v84, v9, -v55
	v_add_f32_e32 v9, v69, v60
	v_mul_f32_e32 v10, v87, v56
	s_delay_alu instid0(VALU_DEP_4)
	v_fma_f32 v77, v11, v88, -v61
	v_fmac_f32_e32 v76, v86, v56
	v_add_f32_e32 v11, v54, v8
	v_sub_f32_e32 v74, v54, v8
	v_sub_f32_e32 v78, v69, v60
	v_fma_f32 v80, v57, v86, -v10
	v_add_f32_e32 v82, v76, v75
	v_sub_f32_e32 v83, v116, v79
	v_add_f32_e32 v84, v116, v79
	s_wait_dscnt 0x0
	v_add_f32_e32 v56, v66, v69
	v_fma_f32 v66, -0.5, v9, v66
	v_add_f32_e32 v9, v67, v54
	ds_load_b64 v[54:55], v47
	v_dual_fmac_f32 v67, -0.5, v11 :: v_dual_add_f32 v56, v56, v60
	v_dual_fmamk_f32 v60, v74, 0xbf5db3d7, v66 :: v_dual_add_f32 v57, v9, v8
	ds_load_b64 v[64:65], v48
	ds_load_b64 v[68:69], v45
	;; [unrolled: 1-line block ×6, first 2 shown]
	v_fmamk_f32 v61, v78, 0x3f5db3d7, v67
	v_dual_fmac_f32 v67, 0xbf5db3d7, v78 :: v_dual_add_f32 v78, v80, v77
	v_fmac_f32_e32 v66, 0x3f5db3d7, v74
	global_wb scope:SCOPE_SE
	s_wait_dscnt 0x0
	s_barrier_signal -1
	s_barrier_wait -1
	global_inv scope:SCOPE_SE
	ds_store_b64 v41, v[56:57]
	ds_store_b64 v41, v[60:61] offset:2160
	ds_store_b64 v41, v[66:67] offset:4320
	v_add_f32_e32 v61, v108, v95
	v_add_f32_e32 v60, v106, v107
	;; [unrolled: 1-line block ×3, first 2 shown]
	v_fma_f32 v54, -0.5, v82, v54
	v_add_f32_e32 v82, v55, v80
	v_dual_sub_f32 v80, v80, v77 :: v_dual_fmac_f32 v55, -0.5, v78
	v_sub_f32_e32 v76, v76, v75
	v_add_f32_e32 v74, v74, v75
	s_delay_alu instid0(VALU_DEP_4) | instskip(NEXT) | instid1(VALU_DEP_4)
	v_add_f32_e32 v75, v82, v77
	v_dual_add_f32 v67, v65, v108 :: v_dual_fmamk_f32 v56, v80, 0xbf5db3d7, v54
	s_delay_alu instid0(VALU_DEP_4) | instskip(SKIP_2) | instid1(VALU_DEP_4)
	v_dual_fmamk_f32 v57, v76, 0x3f5db3d7, v55 :: v_dual_fmac_f32 v54, 0x3f5db3d7, v80
	v_dual_fmac_f32 v55, 0xbf5db3d7, v76 :: v_dual_add_f32 v66, v64, v106
	v_fmac_f32_e32 v65, -0.5, v61
	v_add_f32_e32 v61, v67, v95
	ds_store_b64 v47, v[74:75]
	ds_store_b64 v47, v[56:57] offset:2160
	ds_store_b64 v47, v[54:55] offset:4320
	v_add_f32_e32 v67, v110, v97
	s_wait_alu 0xf1ff
	v_cndmask_b32_e64 v74, 0, 0x1950, s0
	v_fma_f32 v64, -0.5, v60, v64
	v_sub_f32_e32 v76, v108, v95
	v_sub_f32_e32 v77, v106, v107
	v_add_f32_e32 v60, v66, v107
	v_add_f32_e32 v56, v94, v109
	;; [unrolled: 1-line block ×4, first 2 shown]
	v_add3_u32 v50, 0, v74, v50
	v_dual_add_f32 v74, v113, v90 :: v_dual_fmac_f32 v59, -0.5, v67
	v_dual_sub_f32 v67, v94, v109 :: v_dual_fmamk_f32 v54, v76, 0xbf5db3d7, v64
	v_dual_fmamk_f32 v55, v77, 0x3f5db3d7, v65 :: v_dual_fmac_f32 v64, 0x3f5db3d7, v76
	v_fmac_f32_e32 v65, 0xbf5db3d7, v77
	v_fma_f32 v58, -0.5, v56, v58
	v_add_f32_e32 v56, v57, v109
	ds_store_b64 v48, v[60:61]
	ds_store_b64 v48, v[54:55] offset:2160
	ds_store_b64 v48, v[64:65] offset:4320
	v_fmamk_f32 v55, v67, 0x3f5db3d7, v59
	v_dual_fmac_f32 v59, 0xbf5db3d7, v67 :: v_dual_sub_f32 v76, v101, v105
	v_sub_f32_e32 v67, v113, v90
	v_add_f32_e32 v57, v66, v97
	v_sub_f32_e32 v66, v110, v97
	v_dual_add_f32 v60, v96, v111 :: v_dual_add_f32 v61, v62, v96
	v_dual_add_f32 v64, v63, v98 :: v_dual_add_f32 v65, v101, v105
	s_delay_alu instid0(VALU_DEP_3)
	v_fmamk_f32 v54, v66, 0xbf5db3d7, v58
	v_fmac_f32_e32 v58, 0x3f5db3d7, v66
	ds_store_b64 v50, v[56:57]
	ds_store_b64 v50, v[54:55] offset:2160
	ds_store_b64 v50, v[58:59] offset:4320
	v_add_f32_e32 v50, v98, v102
	v_fma_f32 v62, -0.5, v60, v62
	v_dual_sub_f32 v60, v98, v102 :: v_dual_add_f32 v57, v68, v99
	s_delay_alu instid0(VALU_DEP_3) | instskip(SKIP_1) | instid1(VALU_DEP_3)
	v_dual_add_f32 v66, v71, v113 :: v_dual_fmac_f32 v63, -0.5, v50
	v_add_f32_e32 v50, v99, v103
	v_fmamk_f32 v56, v60, 0xbf5db3d7, v62
	v_fmac_f32_e32 v62, 0x3f5db3d7, v60
	v_sub_f32_e32 v60, v96, v111
	v_add_f32_e32 v58, v57, v103
	v_fma_f32 v68, -0.5, v50, v68
	v_sub_f32_e32 v50, v100, v104
	s_delay_alu instid0(VALU_DEP_4) | instskip(SKIP_2) | instid1(VALU_DEP_4)
	v_dual_add_f32 v82, v11, v116 :: v_dual_fmamk_f32 v57, v60, 0x3f5db3d7, v63
	v_fmac_f32_e32 v63, 0xbf5db3d7, v60
	v_dual_add_f32 v59, v69, v100 :: v_dual_sub_f32 v78, v112, v91
	v_fmamk_f32 v60, v50, 0xbf5db3d7, v68
	v_fmac_f32_e32 v68, 0x3f5db3d7, v50
	v_add_f32_e32 v50, v70, v101
	v_fma_f32 v70, -0.5, v65, v70
	v_add_f32_e32 v65, v66, v90
	v_dual_add_f32 v79, v82, v79 :: v_dual_add_f32 v82, v8, v117
	v_add_f32_e32 v80, v115, v92
	s_delay_alu instid0(VALU_DEP_4) | instskip(SKIP_4) | instid1(VALU_DEP_3)
	v_fmamk_f32 v66, v67, 0xbf5db3d7, v70
	v_fmac_f32_e32 v70, 0x3f5db3d7, v67
	v_dual_add_f32 v54, v61, v111 :: v_dual_add_f32 v61, v100, v104
	v_dual_add_f32 v67, v72, v112 :: v_dual_add_f32 v82, v82, v118
	v_dual_add_f32 v55, v64, v102 :: v_dual_sub_f32 v64, v99, v103
	v_fmac_f32_e32 v69, -0.5, v61
	v_fmac_f32_e32 v71, -0.5, v74
	v_add_f32_e32 v77, v114, v93
	v_add_f32_e32 v59, v59, v104
	;; [unrolled: 1-line block ×3, first 2 shown]
	v_fmamk_f32 v61, v64, 0x3f5db3d7, v69
	v_dual_fmac_f32 v69, 0xbf5db3d7, v64 :: v_dual_add_f32 v64, v50, v105
	v_add_f32_e32 v50, v112, v91
	v_dual_add_f32 v74, v67, v91 :: v_dual_fmac_f32 v73, -0.5, v77
	v_fmac_f32_e32 v11, -0.5, v84
	v_sub_f32_e32 v84, v115, v92
	s_delay_alu instid0(VALU_DEP_4) | instskip(SKIP_3) | instid1(VALU_DEP_3)
	v_fma_f32 v72, -0.5, v50, v72
	v_dual_sub_f32 v50, v114, v93 :: v_dual_fmamk_f32 v67, v76, 0x3f5db3d7, v71
	v_fmac_f32_e32 v71, 0xbf5db3d7, v76
	v_fmamk_f32 v77, v78, 0x3f5db3d7, v73
	v_dual_fmac_f32 v73, 0xbf5db3d7, v78 :: v_dual_fmamk_f32 v76, v50, 0xbf5db3d7, v72
	v_fmac_f32_e32 v72, 0x3f5db3d7, v50
	v_add_f32_e32 v50, v10, v115
	v_fma_f32 v10, -0.5, v80, v10
	s_delay_alu instid0(VALU_DEP_2) | instskip(SKIP_1) | instid1(VALU_DEP_3)
	v_add_f32_e32 v78, v50, v92
	v_add_f32_e32 v50, v117, v118
	v_fmamk_f32 v80, v83, 0xbf5db3d7, v10
	v_dual_fmac_f32 v10, 0x3f5db3d7, v83 :: v_dual_add_f32 v83, v9, v81
	v_fmac_f32_e32 v9, -0.5, v85
	s_delay_alu instid0(VALU_DEP_4)
	v_fma_f32 v8, -0.5, v50, v8
	v_dual_sub_f32 v50, v81, v119 :: v_dual_fmamk_f32 v81, v84, 0x3f5db3d7, v11
	v_fmac_f32_e32 v11, 0xbf5db3d7, v84
	v_mul_u32_u24_e32 v84, 0x1950, v49
	v_sub_f32_e32 v85, v117, v118
	v_add_f32_e32 v75, v75, v93
	ds_store_2addr_b64 v15, v[54:55], v[58:59] offset0:96 offset1:177
	ds_store_2addr_b64 v43, v[56:57], v[60:61] offset0:110 offset1:191
	;; [unrolled: 1-line block ×3, first 2 shown]
	v_add_f32_e32 v83, v83, v119
	v_add3_u32 v0, 0, v84, v0
	ds_store_b64 v0, v[64:65]
	ds_store_b64 v0, v[66:67] offset:2160
	ds_store_b64 v0, v[70:71] offset:4320
	v_dual_fmamk_f32 v49, v50, 0xbf5db3d7, v8 :: v_dual_lshlrev_b32 v0, 1, v38
	v_fmac_f32_e32 v8, 0x3f5db3d7, v50
	v_fmamk_f32 v50, v85, 0x3f5db3d7, v9
	v_fmac_f32_e32 v9, 0xbf5db3d7, v85
	ds_store_b64 v53, v[74:75] offset:12960
	ds_store_b64 v53, v[76:77] offset:15120
	;; [unrolled: 1-line block ×9, first 2 shown]
	v_lshlrev_b64_e32 v[49:50], 3, v[0:1]
	global_wb scope:SCOPE_SE
	s_wait_dscnt 0x0
	s_barrier_signal -1
	s_barrier_wait -1
	global_inv scope:SCOPE_SE
	s_clause 0x1
	global_load_b128 v[8:11], v[4:5], off offset:6400
	global_load_b128 v[53:56], v[2:3], off offset:6400
	v_add_co_u32 v4, s0, s8, v49
	v_lshlrev_b32_e32 v0, 1, v37
	s_wait_alu 0xf1ff
	v_add_co_ci_u32_e64 v5, s0, s9, v50, s0
	global_load_b128 v[57:60], v[6:7], off offset:6400
	v_lshlrev_b64_e32 v[2:3], 3, v[0:1]
	global_load_b128 v[49:52], v[4:5], off offset:6400
	v_lshlrev_b32_e32 v0, 1, v36
	v_add_co_u32 v2, s0, s8, v2
	s_wait_alu 0xf1ff
	v_add_co_ci_u32_e64 v3, s0, s9, v3, s0
	global_load_b128 v[61:64], v[2:3], off offset:6400
	v_lshlrev_b64_e32 v[4:5], 3, v[0:1]
	v_lshlrev_b32_e32 v0, 1, v35
	s_delay_alu instid0(VALU_DEP_2) | instskip(SKIP_1) | instid1(VALU_DEP_3)
	v_add_co_u32 v2, s0, s8, v4
	s_wait_alu 0xf1ff
	v_add_co_ci_u32_e64 v3, s0, s9, v5, s0
	s_delay_alu instid0(VALU_DEP_3)
	v_lshlrev_b64_e32 v[4:5], 3, v[0:1]
	v_lshlrev_b32_e32 v0, 1, v34
	global_load_b128 v[65:68], v[2:3], off offset:6400
	v_add_co_u32 v4, s0, s8, v4
	s_wait_alu 0xf1ff
	v_add_co_ci_u32_e64 v5, s0, s9, v5, s0
	global_load_b128 v[69:72], v[4:5], off offset:6400
	v_lshlrev_b64_e32 v[2:3], 3, v[0:1]
	v_lshlrev_b32_e32 v0, 1, v33
	s_delay_alu instid0(VALU_DEP_2) | instskip(NEXT) | instid1(VALU_DEP_2)
	v_add_co_u32 v2, s0, s8, v2
	v_lshlrev_b64_e32 v[4:5], 3, v[0:1]
	s_wait_alu 0xf1ff
	s_delay_alu instid0(VALU_DEP_4)
	v_add_co_ci_u32_e64 v3, s0, s9, v3, s0
	v_lshlrev_b32_e32 v0, 1, v32
	global_load_b128 v[73:76], v[2:3], off offset:6400
	v_add_co_u32 v2, s0, s8, v4
	s_wait_alu 0xf1ff
	v_add_co_ci_u32_e64 v3, s0, s9, v5, s0
	v_lshlrev_b64_e32 v[4:5], 3, v[0:1]
	global_load_b128 v[77:80], v[2:3], off offset:6400
	v_add_co_u32 v2, s0, s8, v4
	s_wait_alu 0xf1ff
	v_add_co_ci_u32_e64 v3, s0, s9, v5, s0
	global_load_b128 v[81:84], v[2:3], off offset:6400
	ds_load_2addr_b64 v[2:5], v42 offset0:76 offset1:157
	ds_load_2addr_b64 v[85:88], v17 offset0:118 offset1:199
	ds_load_b64 v[93:94], v41 offset:6480
	ds_load_2addr_b64 v[89:92], v44 offset0:84 offset1:165
	ds_load_2addr_b32 v[95:96], v15 offset0:246 offset1:247
	s_wait_loadcnt_dscnt 0x903
	v_dual_mul_f32 v0, v3, v9 :: v_dual_mul_f32 v17, v86, v11
	v_mul_f32_e32 v6, v85, v11
	s_wait_loadcnt_dscnt 0x802
	v_mul_f32_e32 v42, v54, v94
	s_delay_alu instid0(VALU_DEP_3) | instskip(SKIP_2) | instid1(VALU_DEP_4)
	v_fmac_f32_e32 v0, v2, v8
	v_dual_mul_f32 v2, v2, v9 :: v_dual_fmac_f32 v17, v85, v10
	v_fma_f32 v98, v86, v10, -v6
	v_fmac_f32_e32 v42, v53, v93
	s_wait_loadcnt 0x6
	v_mul_f32_e32 v44, v5, v50
	v_mul_f32_e32 v7, v4, v50
	v_fma_f32 v97, v3, v8, -v2
	v_mul_f32_e32 v100, v88, v52
	s_delay_alu instid0(VALU_DEP_4) | instskip(NEXT) | instid1(VALU_DEP_4)
	v_dual_mul_f32 v15, v87, v52 :: v_dual_fmac_f32 v44, v4, v49
	v_fma_f32 v99, v5, v49, -v7
	ds_load_b64 v[4:5], v46
	ds_load_b64 v[2:3], v18
	ds_load_2addr_b64 v[6:9], v43 offset0:110 offset1:191
	ds_load_b64 v[10:11], v41
	v_fmac_f32_e32 v100, v87, v51
	v_fma_f32 v101, v88, v51, -v15
	ds_load_2addr_b64 v[49:52], v40 offset0:152 offset1:233
	s_wait_dscnt 0x6
	v_dual_mul_f32 v15, v54, v93 :: v_dual_mul_f32 v40, v56, v90
	v_mul_f32_e32 v43, v56, v89
	ds_load_2addr_b64 v[85:88], v20 offset0:58 offset1:139
	v_fma_f32 v15, v53, v94, -v15
	v_dual_fmac_f32 v40, v55, v89 :: v_dual_mul_f32 v89, v92, v60
	v_fma_f32 v43, v55, v90, -v43
	s_wait_loadcnt_dscnt 0x403
	v_dual_mul_f32 v94, v9, v66 :: v_dual_mul_f32 v53, v91, v60
	s_delay_alu instid0(VALU_DEP_1) | instskip(NEXT) | instid1(VALU_DEP_2)
	v_fmac_f32_e32 v94, v8, v65
	v_fma_f32 v90, v92, v59, -v53
	ds_load_2addr_b64 v[53:56], v12 offset0:16 offset1:97
	v_mul_f32_e32 v12, v7, v62
	v_dual_mul_f32 v93, v96, v58 :: v_dual_mul_f32 v58, v58, v95
	s_wait_loadcnt_dscnt 0x301
	v_dual_fmac_f32 v89, v91, v59 :: v_dual_mul_f32 v104, v86, v72
	s_delay_alu instid0(VALU_DEP_2) | instskip(NEXT) | instid1(VALU_DEP_3)
	v_dual_fmac_f32 v12, v6, v61 :: v_dual_fmac_f32 v93, v57, v95
	v_fma_f32 v20, v96, v57, -v58
	v_dual_mul_f32 v96, v52, v68 :: v_dual_mul_f32 v59, v6, v62
	v_mul_f32_e32 v6, v49, v64
	v_dual_mul_f32 v91, v50, v64 :: v_dual_fmac_f32 v104, v85, v71
	s_delay_alu instid0(VALU_DEP_3) | instskip(NEXT) | instid1(VALU_DEP_4)
	v_fmac_f32_e32 v96, v51, v67
	v_fma_f32 v92, v7, v61, -v59
	v_mul_f32_e32 v7, v8, v66
	v_fma_f32 v95, v50, v63, -v6
	ds_load_2addr_b64 v[57:60], v16 offset0:92 offset1:173
	v_add_f32_e32 v66, v97, v98
	s_wait_dscnt 0x1
	v_mul_f32_e32 v16, v53, v70
	v_fma_f32 v102, v9, v65, -v7
	ds_load_2addr_b64 v[6:9], v29 offset0:50 offset1:131
	s_wait_loadcnt 0x2
	v_dual_mul_f32 v106, v56, v74 :: v_dual_fmac_f32 v91, v49, v63
	v_mul_f32_e32 v103, v54, v70
	v_mul_f32_e32 v49, v85, v72
	v_fma_f32 v105, v54, v69, -v16
	v_mul_f32_e32 v16, v55, v74
	v_mul_f32_e32 v29, v51, v68
	v_fmac_f32_e32 v106, v55, v73
	v_fmac_f32_e32 v103, v53, v69
	v_sub_f32_e32 v63, v93, v89
	v_fma_f32 v107, v56, v73, -v16
	v_mul_f32_e32 v16, v87, v76
	v_fma_f32 v29, v52, v67, -v29
	s_wait_loadcnt_dscnt 0x101
	v_mul_f32_e32 v109, v58, v80
	s_wait_loadcnt 0x0
	v_mul_f32_e32 v112, v60, v84
	s_wait_dscnt 0x0
	v_mul_f32_e32 v110, v9, v82
	v_dual_mul_f32 v108, v7, v78 :: v_dual_mul_f32 v85, v88, v76
	v_fma_f32 v86, v86, v71, -v49
	v_mul_f32_e32 v49, v6, v78
	s_delay_alu instid0(VALU_DEP_3) | instskip(NEXT) | instid1(VALU_DEP_4)
	v_dual_fmac_f32 v109, v57, v79 :: v_dual_fmac_f32 v108, v6, v77
	v_dual_mul_f32 v6, v8, v82 :: v_dual_fmac_f32 v85, v87, v75
	v_fma_f32 v87, v88, v75, -v16
	v_mul_f32_e32 v16, v57, v80
	v_fma_f32 v88, v7, v77, -v49
	v_dual_mul_f32 v7, v59, v84 :: v_dual_fmac_f32 v110, v8, v81
	v_fma_f32 v113, v9, v81, -v6
	v_add_f32_e32 v6, v42, v40
	v_fma_f32 v111, v58, v79, -v16
	s_delay_alu instid0(VALU_DEP_4)
	v_fma_f32 v114, v60, v83, -v7
	v_dual_add_f32 v16, v10, v42 :: v_dual_add_f32 v49, v11, v15
	v_add_f32_e32 v8, v15, v43
	v_fmac_f32_e32 v112, v59, v83
	v_sub_f32_e32 v59, v15, v43
	v_fma_f32 v10, -0.5, v6, v10
	ds_load_b64 v[6:7], v47
	v_add_f32_e32 v15, v16, v40
	v_fmac_f32_e32 v11, -0.5, v8
	ds_load_b64 v[8:9], v48
	v_sub_f32_e32 v60, v42, v40
	v_fmamk_f32 v42, v59, 0xbf5db3d7, v10
	s_wait_dscnt 0x1
	v_dual_fmac_f32 v10, 0x3f5db3d7, v59 :: v_dual_add_f32 v59, v6, v93
	s_wait_dscnt 0x0
	v_dual_add_f32 v64, v9, v97 :: v_dual_fmac_f32 v9, -0.5, v66
	s_delay_alu instid0(VALU_DEP_2)
	v_dual_add_f32 v59, v59, v89 :: v_dual_add_f32 v16, v49, v43
	v_fmamk_f32 v43, v60, 0x3f5db3d7, v11
	v_dual_fmac_f32 v11, 0xbf5db3d7, v60 :: v_dual_add_f32 v60, v20, v90
	v_add_f32_e32 v40, v93, v89
	ds_load_b64 v[49:50], v45
	ds_load_b64 v[51:52], v23
	;; [unrolled: 1-line block ×5, first 2 shown]
	v_add_f32_e32 v66, v5, v99
	global_wb scope:SCOPE_SE
	s_wait_dscnt 0x0
	s_barrier_signal -1
	v_fma_f32 v6, -0.5, v40, v6
	v_add_f32_e32 v40, v7, v20
	v_dual_fmac_f32 v7, -0.5, v60 :: v_dual_sub_f32 v20, v20, v90
	s_barrier_wait -1
	global_inv scope:SCOPE_SE
	v_fmamk_f32 v62, v63, 0x3f5db3d7, v7
	v_fmac_f32_e32 v7, 0xbf5db3d7, v63
	v_fmamk_f32 v61, v20, 0xbf5db3d7, v6
	v_fmac_f32_e32 v6, 0x3f5db3d7, v20
	v_add_f32_e32 v20, v8, v0
	v_add_f32_e32 v60, v40, v90
	v_add_f32_e32 v40, v0, v17
	v_sub_f32_e32 v0, v0, v17
	s_delay_alu instid0(VALU_DEP_4) | instskip(SKIP_1) | instid1(VALU_DEP_4)
	v_add_f32_e32 v63, v20, v17
	v_add_f32_e32 v17, v99, v101
	v_fma_f32 v8, -0.5, v40, v8
	s_delay_alu instid0(VALU_DEP_2) | instskip(SKIP_1) | instid1(VALU_DEP_2)
	v_dual_sub_f32 v40, v97, v98 :: v_dual_fmac_f32 v5, -0.5, v17
	v_sub_f32_e32 v17, v44, v100
	v_fmamk_f32 v65, v40, 0xbf5db3d7, v8
	v_add_f32_e32 v64, v64, v98
	v_fmac_f32_e32 v8, 0x3f5db3d7, v40
	v_add_f32_e32 v40, v4, v44
	v_fmamk_f32 v70, v17, 0x3f5db3d7, v5
	v_fmac_f32_e32 v5, 0xbf5db3d7, v17
	v_add_f32_e32 v17, v92, v95
	v_add_f32_e32 v20, v44, v100
	;; [unrolled: 1-line block ×3, first 2 shown]
	s_delay_alu instid0(VALU_DEP_3) | instskip(NEXT) | instid1(VALU_DEP_3)
	v_dual_add_f32 v40, v3, v92 :: v_dual_fmac_f32 v3, -0.5, v17
	v_fma_f32 v4, -0.5, v20, v4
	v_dual_sub_f32 v20, v99, v101 :: v_dual_add_f32 v17, v49, v94
	s_delay_alu instid0(VALU_DEP_1) | instskip(SKIP_2) | instid1(VALU_DEP_4)
	v_fmamk_f32 v69, v20, 0xbf5db3d7, v4
	v_fmac_f32_e32 v4, 0x3f5db3d7, v20
	v_add_f32_e32 v20, v2, v12
	v_dual_add_f32 v68, v66, v101 :: v_dual_add_f32 v75, v17, v96
	v_dual_fmamk_f32 v66, v0, 0x3f5db3d7, v9 :: v_dual_sub_f32 v17, v94, v96
	v_dual_fmac_f32 v9, 0xbf5db3d7, v0 :: v_dual_add_f32 v0, v12, v91
	v_sub_f32_e32 v12, v12, v91
	s_delay_alu instid0(VALU_DEP_1) | instskip(SKIP_1) | instid1(VALU_DEP_4)
	v_fmamk_f32 v74, v12, 0x3f5db3d7, v3
	v_fmac_f32_e32 v3, 0xbf5db3d7, v12
	v_fma_f32 v2, -0.5, v0, v2
	v_sub_f32_e32 v0, v92, v95
	s_delay_alu instid0(VALU_DEP_1) | instskip(SKIP_2) | instid1(VALU_DEP_1)
	v_dual_add_f32 v12, v103, v104 :: v_dual_fmamk_f32 v73, v0, 0xbf5db3d7, v2
	v_fmac_f32_e32 v2, 0x3f5db3d7, v0
	v_add_f32_e32 v0, v94, v96
	v_fma_f32 v49, -0.5, v0, v49
	v_sub_f32_e32 v0, v102, v29
	s_delay_alu instid0(VALU_DEP_1) | instskip(SKIP_4) | instid1(VALU_DEP_4)
	v_fmamk_f32 v77, v0, 0xbf5db3d7, v49
	v_dual_add_f32 v71, v20, v91 :: v_dual_add_f32 v20, v50, v102
	v_dual_fmac_f32 v49, 0x3f5db3d7, v0 :: v_dual_add_f32 v0, v51, v103
	v_fma_f32 v51, -0.5, v12, v51
	v_sub_f32_e32 v12, v105, v86
	v_add_f32_e32 v76, v20, v29
	v_add_f32_e32 v20, v52, v105
	s_delay_alu instid0(VALU_DEP_3) | instskip(SKIP_1) | instid1(VALU_DEP_3)
	v_fmamk_f32 v81, v12, 0xbf5db3d7, v51
	v_dual_fmac_f32 v51, 0x3f5db3d7, v12 :: v_dual_add_f32 v12, v53, v106
	v_add_f32_e32 v80, v20, v86
	s_delay_alu instid0(VALU_DEP_2) | instskip(SKIP_2) | instid1(VALU_DEP_2)
	v_dual_sub_f32 v20, v103, v104 :: v_dual_add_f32 v83, v12, v85
	v_dual_add_f32 v79, v0, v104 :: v_dual_add_f32 v0, v106, v85
	v_sub_f32_e32 v12, v106, v85
	v_fma_f32 v53, -0.5, v0, v53
	v_sub_f32_e32 v0, v107, v87
	v_add_f32_e32 v72, v40, v95
	v_dual_add_f32 v40, v102, v29 :: v_dual_add_f32 v29, v107, v87
	s_delay_alu instid0(VALU_DEP_3) | instskip(SKIP_1) | instid1(VALU_DEP_3)
	v_fmamk_f32 v85, v0, 0xbf5db3d7, v53
	v_fmac_f32_e32 v53, 0x3f5db3d7, v0
	v_fmac_f32_e32 v50, -0.5, v40
	v_add_f32_e32 v0, v55, v108
	s_delay_alu instid0(VALU_DEP_2) | instskip(SKIP_1) | instid1(VALU_DEP_1)
	v_fmamk_f32 v78, v17, 0x3f5db3d7, v50
	v_dual_fmac_f32 v50, 0xbf5db3d7, v17 :: v_dual_add_f32 v17, v105, v86
	v_dual_fmac_f32 v52, -0.5, v17 :: v_dual_add_f32 v17, v54, v107
	v_dual_fmac_f32 v54, -0.5, v29 :: v_dual_add_f32 v29, v113, v114
	s_delay_alu instid0(VALU_DEP_2) | instskip(NEXT) | instid1(VALU_DEP_3)
	v_fmamk_f32 v82, v20, 0x3f5db3d7, v52
	v_dual_add_f32 v84, v17, v87 :: v_dual_add_f32 v17, v108, v109
	s_delay_alu instid0(VALU_DEP_3)
	v_fmamk_f32 v86, v12, 0x3f5db3d7, v54
	v_fmac_f32_e32 v54, 0xbf5db3d7, v12
	v_add_f32_e32 v12, v88, v111
	v_fmac_f32_e32 v52, 0xbf5db3d7, v20
	v_add_f32_e32 v20, v56, v88
	v_fma_f32 v55, -0.5, v17, v55
	v_sub_f32_e32 v17, v88, v111
	v_dual_add_f32 v87, v0, v109 :: v_dual_fmac_f32 v56, -0.5, v12
	v_add_f32_e32 v0, v110, v112
	v_add_f32_e32 v12, v57, v110
	s_delay_alu instid0(VALU_DEP_4) | instskip(SKIP_2) | instid1(VALU_DEP_4)
	v_dual_add_f32 v88, v20, v111 :: v_dual_fmamk_f32 v89, v17, 0xbf5db3d7, v55
	v_fmac_f32_e32 v55, 0x3f5db3d7, v17
	v_add_f32_e32 v17, v58, v113
	v_add_f32_e32 v91, v12, v112
	v_sub_f32_e32 v20, v108, v109
	v_fma_f32 v57, -0.5, v0, v57
	v_sub_f32_e32 v0, v113, v114
	v_fmac_f32_e32 v58, -0.5, v29
	v_sub_f32_e32 v12, v110, v112
	v_add_f32_e32 v92, v17, v114
	v_fmamk_f32 v90, v20, 0x3f5db3d7, v56
	v_dual_fmac_f32 v56, 0xbf5db3d7, v20 :: v_dual_fmamk_f32 v93, v0, 0xbf5db3d7, v57
	s_delay_alu instid0(VALU_DEP_4)
	v_dual_fmac_f32 v57, 0x3f5db3d7, v0 :: v_dual_fmamk_f32 v94, v12, 0x3f5db3d7, v58
	v_fmac_f32_e32 v58, 0xbf5db3d7, v12
	ds_store_b64 v41, v[15:16]
	ds_store_b64 v41, v[42:43] offset:6480
	ds_store_b64 v41, v[10:11] offset:12960
	ds_store_b64 v47, v[59:60]
	ds_store_b64 v47, v[61:62] offset:6480
	ds_store_b64 v47, v[6:7] offset:12960
	;; [unrolled: 3-line block ×10, first 2 shown]
	global_wb scope:SCOPE_SE
	s_wait_dscnt 0x0
	s_barrier_signal -1
	s_barrier_wait -1
	global_inv scope:SCOPE_SE
	ds_load_b64 v[6:7], v41
	v_sub_nc_u32_e32 v0, 0, v25
                                        ; implicit-def: $vgpr5
                                        ; implicit-def: $vgpr8
                                        ; implicit-def: $vgpr2_vgpr3
	v_cmpx_ne_u32_e32 0, v24
	s_wait_alu 0xfffe
	s_xor_b32 s1, exec_lo, s1
	s_cbranch_execz .LBB0_15
; %bb.14:
	ds_load_b64 v[3:4], v0 offset:19440
	s_wait_dscnt 0x0
	v_dual_mov_b32 v25, v1 :: v_dual_add_f32 v8, v4, v7
	s_delay_alu instid0(VALU_DEP_1) | instskip(SKIP_1) | instid1(VALU_DEP_3)
	v_lshlrev_b64_e32 v[1:2], 3, v[24:25]
	v_dual_sub_f32 v5, v6, v3 :: v_dual_sub_f32 v4, v7, v4
	v_dual_add_f32 v3, v3, v6 :: v_dual_mul_f32 v6, 0.5, v8
	s_delay_alu instid0(VALU_DEP_3) | instskip(NEXT) | instid1(VALU_DEP_3)
	v_add_co_u32 v1, s0, s8, v1
	v_mul_f32_e32 v4, 0.5, v4
	s_wait_alu 0xf1ff
	v_add_co_ci_u32_e64 v2, s0, s9, v2, s0
	v_mul_f32_e32 v5, 0.5, v5
	global_load_b64 v[1:2], v[1:2], off offset:19360
	s_wait_loadcnt 0x0
	v_mul_f32_e32 v7, v2, v5
	v_fma_f32 v8, v6, v2, v4
	v_fma_f32 v2, v6, v2, -v4
	s_delay_alu instid0(VALU_DEP_3) | instskip(SKIP_1) | instid1(VALU_DEP_4)
	v_fma_f32 v9, 0.5, v3, v7
	v_fma_f32 v3, v3, 0.5, -v7
	v_fma_f32 v8, -v1, v5, v8
	s_delay_alu instid0(VALU_DEP_4) | instskip(NEXT) | instid1(VALU_DEP_4)
	v_fma_f32 v5, -v1, v5, v2
	v_fmac_f32_e32 v9, v1, v6
	s_delay_alu instid0(VALU_DEP_4)
	v_fma_f32 v4, -v1, v6, v3
	v_dual_mov_b32 v2, v24 :: v_dual_mov_b32 v3, v25
                                        ; implicit-def: $vgpr6_vgpr7
	ds_store_b32 v41, v9
.LBB0_15:
	s_wait_alu 0xfffe
	s_or_saveexec_b32 s0, s1
	v_mul_i32_i24_e32 v9, 0xffffffb8, v28
	v_mul_i32_i24_e32 v1, 0xffffffb8, v39
	s_wait_alu 0xfffe
	s_xor_b32 exec_lo, exec_lo, s0
	s_cbranch_execz .LBB0_17
; %bb.16:
	v_mov_b32_e32 v8, 0
	s_wait_dscnt 0x0
	v_add_f32_e32 v10, v6, v7
	v_sub_f32_e32 v4, v6, v7
	ds_load_b32 v2, v8 offset:9724
	s_wait_dscnt 0x0
	v_xor_b32_e32 v6, 0x80000000, v2
	v_mov_b32_e32 v2, 0
	v_mov_b32_e32 v3, 0
	;; [unrolled: 1-line block ×3, first 2 shown]
	ds_store_b32 v41, v10
	ds_store_b32 v8, v6 offset:9724
.LBB0_17:
	s_or_b32 exec_lo, exec_lo, s0
	v_dual_mov_b32 v29, 0 :: v_dual_add_nc_u32 v14, v14, v9
	v_add_nc_u32_e32 v1, v13, v1
	s_wait_dscnt 0x0
	s_delay_alu instid0(VALU_DEP_2) | instskip(SKIP_1) | instid1(VALU_DEP_1)
	v_lshlrev_b64_e32 v[6:7], 3, v[28:29]
	v_mov_b32_e32 v40, v29
	v_lshlrev_b64_e32 v[10:11], 3, v[39:40]
	v_mov_b32_e32 v39, v29
	s_delay_alu instid0(VALU_DEP_4) | instskip(SKIP_2) | instid1(VALU_DEP_4)
	v_add_co_u32 v6, s0, s8, v6
	s_wait_alu 0xf1ff
	v_add_co_ci_u32_e64 v7, s0, s9, v7, s0
	v_add_co_u32 v10, s0, s8, v10
	s_wait_alu 0xf1ff
	v_add_co_ci_u32_e64 v11, s0, s9, v11, s0
	global_load_b64 v[6:7], v[6:7], off offset:19360
	v_lshlrev_b64_e32 v[15:16], 3, v[38:39]
	v_mov_b32_e32 v38, v29
	global_load_b64 v[10:11], v[10:11], off offset:19360
	v_add_co_u32 v15, s0, s8, v15
	s_wait_alu 0xf1ff
	v_add_co_ci_u32_e64 v16, s0, s9, v16, s0
	v_lshlrev_b64_e32 v[37:38], 3, v[37:38]
	global_load_b64 v[15:16], v[15:16], off offset:19360
	v_add_co_u32 v37, s0, s8, v37
	s_wait_alu 0xf1ff
	v_add_co_ci_u32_e64 v38, s0, s9, v38, s0
	global_load_b64 v[38:39], v[37:38], off offset:19360
	v_mov_b32_e32 v37, v29
	s_delay_alu instid0(VALU_DEP_1) | instskip(NEXT) | instid1(VALU_DEP_1)
	v_lshlrev_b64_e32 v[36:37], 3, v[36:37]
	v_add_co_u32 v36, s0, s8, v36
	s_wait_alu 0xf1ff
	s_delay_alu instid0(VALU_DEP_2) | instskip(SKIP_2) | instid1(VALU_DEP_1)
	v_add_co_ci_u32_e64 v37, s0, s9, v37, s0
	global_load_b64 v[42:43], v[36:37], off offset:19360
	v_mov_b32_e32 v36, v29
	v_lshlrev_b64_e32 v[35:36], 3, v[35:36]
	s_delay_alu instid0(VALU_DEP_1) | instskip(SKIP_1) | instid1(VALU_DEP_2)
	v_add_co_u32 v35, s0, s8, v35
	s_wait_alu 0xf1ff
	v_add_co_ci_u32_e64 v36, s0, s9, v36, s0
	global_load_b64 v[36:37], v[35:36], off offset:19360
	v_mov_b32_e32 v35, v29
	ds_store_b32 v41, v8 offset:4
	ds_store_b64 v0, v[4:5] offset:19440
	v_lshlrev_b64_e32 v[34:35], 3, v[34:35]
	s_delay_alu instid0(VALU_DEP_1) | instskip(SKIP_1) | instid1(VALU_DEP_2)
	v_add_co_u32 v4, s0, s8, v34
	s_wait_alu 0xf1ff
	v_add_co_ci_u32_e64 v5, s0, s9, v35, s0
	ds_load_b64 v[8:9], v14
	ds_load_b64 v[34:35], v0 offset:18792
	global_load_b64 v[4:5], v[4:5], off offset:19360
	s_wait_dscnt 0x0
	v_dual_sub_f32 v12, v8, v34 :: v_dual_add_f32 v17, v9, v35
	v_dual_sub_f32 v9, v9, v35 :: v_dual_add_f32 v8, v8, v34
	s_delay_alu instid0(VALU_DEP_2) | instskip(SKIP_1) | instid1(VALU_DEP_1)
	v_dual_mul_f32 v20, 0.5, v12 :: v_dual_mul_f32 v17, 0.5, v17
	s_wait_loadcnt 0x6
	v_dual_mul_f32 v9, 0.5, v9 :: v_dual_mul_f32 v12, v7, v20
	s_delay_alu instid0(VALU_DEP_1) | instskip(SKIP_1) | instid1(VALU_DEP_3)
	v_fma_f32 v25, v17, v7, v9
	v_fma_f32 v9, v17, v7, -v9
	v_fma_f32 v7, 0.5, v8, v12
	v_mov_b32_e32 v34, v29
	v_fma_f32 v28, v8, 0.5, -v12
	v_fma_f32 v8, -v6, v20, v25
	s_delay_alu instid0(VALU_DEP_4) | instskip(NEXT) | instid1(VALU_DEP_4)
	v_fmac_f32_e32 v7, v6, v17
	v_lshlrev_b64_e32 v[12:13], 3, v[33:34]
	v_fma_f32 v34, -v6, v20, v9
	v_fma_f32 v33, -v6, v17, v28
	ds_store_b64 v14, v[7:8]
	ds_store_b64 v0, v[33:34] offset:18792
	ds_load_b64 v[6:7], v1
	ds_load_b64 v[8:9], v0 offset:18144
	v_add_co_u32 v12, s0, s8, v12
	s_wait_alu 0xf1ff
	v_add_co_ci_u32_e64 v13, s0, s9, v13, s0
	global_load_b64 v[12:13], v[12:13], off offset:19360
	s_wait_dscnt 0x0
	v_dual_sub_f32 v14, v6, v8 :: v_dual_add_f32 v17, v7, v9
	v_dual_sub_f32 v7, v7, v9 :: v_dual_add_f32 v8, v6, v8
	s_delay_alu instid0(VALU_DEP_2) | instskip(SKIP_1) | instid1(VALU_DEP_1)
	v_dual_mul_f32 v14, 0.5, v14 :: v_dual_mul_f32 v17, 0.5, v17
	s_wait_loadcnt 0x6
	v_mul_f32_e32 v9, v11, v14
	s_delay_alu instid0(VALU_DEP_1) | instskip(SKIP_2) | instid1(VALU_DEP_3)
	v_fma_f32 v6, 0.5, v8, v9
	v_mul_f32_e32 v7, 0.5, v7
	v_fma_f32 v25, v8, 0.5, -v9
	v_fmac_f32_e32 v6, v10, v17
	s_delay_alu instid0(VALU_DEP_3) | instskip(SKIP_1) | instid1(VALU_DEP_2)
	v_fma_f32 v20, v17, v11, v7
	v_fma_f32 v11, v17, v11, -v7
	v_fma_f32 v7, -v10, v14, v20
	s_delay_alu instid0(VALU_DEP_2)
	v_fma_f32 v11, -v10, v14, v11
	v_fma_f32 v10, -v10, v17, v25
	ds_store_b64 v1, v[6:7]
	ds_store_b64 v0, v[10:11] offset:18144
	ds_load_b64 v[6:7], v46
	ds_load_b64 v[10:11], v0 offset:17496
	s_wait_dscnt 0x0
	v_dual_add_f32 v14, v7, v11 :: v_dual_mov_b32 v33, v29
	v_sub_f32_e32 v1, v6, v10
	v_dual_sub_f32 v7, v7, v11 :: v_dual_add_f32 v10, v6, v10
	s_delay_alu instid0(VALU_DEP_3) | instskip(NEXT) | instid1(VALU_DEP_4)
	v_mul_f32_e32 v14, 0.5, v14
	v_lshlrev_b64_e32 v[8:9], 3, v[32:33]
	s_delay_alu instid0(VALU_DEP_4) | instskip(SKIP_2) | instid1(VALU_DEP_4)
	v_mul_f32_e32 v11, 0.5, v1
	v_lshlrev_b64_e32 v[1:2], 3, v[2:3]
	v_mul_f32_e32 v7, 0.5, v7
	v_add_co_u32 v8, s0, s8, v8
	s_wait_alu 0xf1ff
	v_add_co_ci_u32_e64 v9, s0, s9, v9, s0
	s_wait_loadcnt 0x5
	v_mul_f32_e32 v17, v16, v11
	s_add_nc_u64 s[0:1], s[8:9], 0x4ba0
	v_fma_f32 v3, v14, v16, v7
	global_load_b64 v[8:9], v[8:9], off offset:19360
	s_wait_alu 0xfffe
	v_add_co_u32 v1, s0, s0, v1
	v_fma_f32 v16, v14, v16, -v7
	v_fma_f32 v6, 0.5, v10, v17
	v_fma_f32 v10, v10, 0.5, -v17
	s_wait_alu 0xf1ff
	v_add_co_ci_u32_e64 v2, s0, s1, v2, s0
	s_delay_alu instid0(VALU_DEP_3)
	v_fmac_f32_e32 v6, v15, v14
	v_fma_f32 v7, -v15, v11, v3
	v_fma_f32 v11, -v15, v11, v16
	;; [unrolled: 1-line block ×3, first 2 shown]
	global_load_b64 v[14:15], v[1:2], off offset:6480
	ds_store_b64 v46, v[6:7]
	ds_store_b64 v0, v[10:11] offset:17496
	ds_load_b64 v[6:7], v18
	ds_load_b64 v[10:11], v0 offset:16848
	s_wait_dscnt 0x0
	v_dual_sub_f32 v3, v6, v10 :: v_dual_add_f32 v16, v7, v11
	v_dual_sub_f32 v7, v7, v11 :: v_dual_add_f32 v10, v6, v10
	s_delay_alu instid0(VALU_DEP_2) | instskip(NEXT) | instid1(VALU_DEP_2)
	v_dual_mul_f32 v3, 0.5, v3 :: v_dual_mul_f32 v16, 0.5, v16
	v_mul_f32_e32 v7, 0.5, v7
	s_wait_loadcnt 0x6
	s_delay_alu instid0(VALU_DEP_2) | instskip(NEXT) | instid1(VALU_DEP_2)
	v_mul_f32_e32 v11, v39, v3
	v_fma_f32 v17, v16, v39, v7
	v_fma_f32 v20, v16, v39, -v7
	s_delay_alu instid0(VALU_DEP_3) | instskip(SKIP_1) | instid1(VALU_DEP_4)
	v_fma_f32 v6, 0.5, v10, v11
	v_fma_f32 v10, v10, 0.5, -v11
	v_fma_f32 v7, -v38, v3, v17
	s_delay_alu instid0(VALU_DEP_4) | instskip(NEXT) | instid1(VALU_DEP_4)
	v_fma_f32 v11, -v38, v3, v20
	v_fmac_f32_e32 v6, v38, v16
	s_delay_alu instid0(VALU_DEP_4)
	v_fma_f32 v10, -v38, v16, v10
	global_load_b64 v[16:17], v[1:2], off offset:7128
	ds_store_b64 v18, v[6:7]
	ds_store_b64 v0, v[10:11] offset:16848
	ds_load_b64 v[6:7], v45
	ds_load_b64 v[10:11], v0 offset:16200
	global_load_b64 v[32:33], v[1:2], off offset:7776
	s_wait_dscnt 0x0
	v_dual_sub_f32 v3, v6, v10 :: v_dual_add_f32 v18, v7, v11
	v_dual_sub_f32 v7, v7, v11 :: v_dual_add_f32 v10, v6, v10
	s_delay_alu instid0(VALU_DEP_2) | instskip(NEXT) | instid1(VALU_DEP_2)
	v_dual_mul_f32 v3, 0.5, v3 :: v_dual_mul_f32 v18, 0.5, v18
	v_mul_f32_e32 v7, 0.5, v7
	s_wait_loadcnt 0x7
	s_delay_alu instid0(VALU_DEP_2) | instskip(NEXT) | instid1(VALU_DEP_2)
	v_mul_f32_e32 v11, v43, v3
	v_fma_f32 v20, v18, v43, v7
	v_fma_f32 v25, v18, v43, -v7
	s_delay_alu instid0(VALU_DEP_3) | instskip(SKIP_1) | instid1(VALU_DEP_4)
	v_fma_f32 v6, 0.5, v10, v11
	v_fma_f32 v10, v10, 0.5, -v11
	v_fma_f32 v7, -v42, v3, v20
	s_delay_alu instid0(VALU_DEP_4) | instskip(NEXT) | instid1(VALU_DEP_4)
	v_fma_f32 v11, -v42, v3, v25
	v_fmac_f32_e32 v6, v42, v18
	s_delay_alu instid0(VALU_DEP_4)
	v_fma_f32 v10, -v42, v18, v10
	ds_store_b64 v45, v[6:7]
	ds_store_b64 v0, v[10:11] offset:16200
	ds_load_b64 v[6:7], v23
	ds_load_b64 v[10:11], v0 offset:15552
	global_load_b64 v[34:35], v[1:2], off offset:8424
	s_wait_dscnt 0x0
	v_dual_sub_f32 v3, v6, v10 :: v_dual_add_f32 v18, v7, v11
	v_dual_sub_f32 v7, v7, v11 :: v_dual_add_f32 v10, v6, v10
	s_delay_alu instid0(VALU_DEP_2) | instskip(NEXT) | instid1(VALU_DEP_2)
	v_dual_mul_f32 v3, 0.5, v3 :: v_dual_mul_f32 v18, 0.5, v18
	v_mul_f32_e32 v7, 0.5, v7
	s_wait_loadcnt 0x7
	s_delay_alu instid0(VALU_DEP_2) | instskip(NEXT) | instid1(VALU_DEP_2)
	v_mul_f32_e32 v11, v37, v3
	v_fma_f32 v20, v18, v37, v7
	v_fma_f32 v25, v18, v37, -v7
	s_delay_alu instid0(VALU_DEP_3) | instskip(SKIP_1) | instid1(VALU_DEP_4)
	v_fma_f32 v6, 0.5, v10, v11
	v_fma_f32 v10, v10, 0.5, -v11
	v_fma_f32 v7, -v36, v3, v20
	s_delay_alu instid0(VALU_DEP_4) | instskip(NEXT) | instid1(VALU_DEP_4)
	v_fma_f32 v11, -v36, v3, v25
	v_fmac_f32_e32 v6, v36, v18
	s_delay_alu instid0(VALU_DEP_4)
	v_fma_f32 v10, -v36, v18, v10
	ds_store_b64 v23, v[6:7]
	ds_store_b64 v0, v[10:11] offset:15552
	ds_load_b64 v[6:7], v21
	ds_load_b64 v[10:11], v0 offset:14904
	global_load_b64 v[1:2], v[1:2], off offset:9072
	s_wait_dscnt 0x0
	v_dual_sub_f32 v3, v6, v10 :: v_dual_add_f32 v18, v7, v11
	v_dual_sub_f32 v7, v7, v11 :: v_dual_add_f32 v6, v6, v10
	s_delay_alu instid0(VALU_DEP_2) | instskip(NEXT) | instid1(VALU_DEP_2)
	v_dual_mul_f32 v3, 0.5, v3 :: v_dual_mul_f32 v18, 0.5, v18
	v_mul_f32_e32 v7, 0.5, v7
	s_wait_loadcnt 0x7
	s_delay_alu instid0(VALU_DEP_2) | instskip(NEXT) | instid1(VALU_DEP_2)
	v_mul_f32_e32 v10, v5, v3
	v_fma_f32 v11, v18, v5, v7
	v_fma_f32 v7, v18, v5, -v7
	s_delay_alu instid0(VALU_DEP_3) | instskip(NEXT) | instid1(VALU_DEP_1)
	v_fma_f32 v5, 0.5, v6, v10
	v_fmac_f32_e32 v5, v4, v18
	v_fma_f32 v10, v6, 0.5, -v10
	v_fma_f32 v6, -v4, v3, v11
	v_fma_f32 v11, -v4, v3, v7
	s_delay_alu instid0(VALU_DEP_3)
	v_fma_f32 v10, -v4, v18, v10
	ds_store_b64 v21, v[5:6]
	ds_store_b64 v0, v[10:11] offset:14904
	ds_load_b64 v[3:4], v22
	ds_load_b64 v[5:6], v0 offset:14256
	s_wait_dscnt 0x0
	v_dual_sub_f32 v7, v3, v5 :: v_dual_add_f32 v10, v4, v6
	v_dual_sub_f32 v4, v4, v6 :: v_dual_add_f32 v5, v3, v5
	s_delay_alu instid0(VALU_DEP_2) | instskip(NEXT) | instid1(VALU_DEP_2)
	v_dual_mul_f32 v6, 0.5, v7 :: v_dual_mul_f32 v7, 0.5, v10
	v_mul_f32_e32 v4, 0.5, v4
	s_wait_loadcnt 0x6
	s_delay_alu instid0(VALU_DEP_2) | instskip(NEXT) | instid1(VALU_DEP_2)
	v_mul_f32_e32 v10, v13, v6
	v_fma_f32 v11, v7, v13, v4
	v_fma_f32 v13, v7, v13, -v4
	s_delay_alu instid0(VALU_DEP_3) | instskip(SKIP_1) | instid1(VALU_DEP_4)
	v_fma_f32 v3, 0.5, v5, v10
	v_fma_f32 v5, v5, 0.5, -v10
	v_fma_f32 v4, -v12, v6, v11
	s_delay_alu instid0(VALU_DEP_4) | instskip(NEXT) | instid1(VALU_DEP_4)
	v_fma_f32 v6, -v12, v6, v13
	v_fmac_f32_e32 v3, v12, v7
	s_delay_alu instid0(VALU_DEP_4)
	v_fma_f32 v5, -v12, v7, v5
	ds_store_b64 v22, v[3:4]
	ds_store_b64 v0, v[5:6] offset:14256
	ds_load_b64 v[3:4], v19
	ds_load_b64 v[5:6], v0 offset:13608
	s_wait_dscnt 0x0
	v_dual_sub_f32 v7, v3, v5 :: v_dual_add_f32 v10, v4, v6
	v_dual_sub_f32 v4, v4, v6 :: v_dual_add_f32 v5, v3, v5
	s_delay_alu instid0(VALU_DEP_2) | instskip(NEXT) | instid1(VALU_DEP_2)
	v_dual_mul_f32 v6, 0.5, v7 :: v_dual_mul_f32 v7, 0.5, v10
	v_mul_f32_e32 v4, 0.5, v4
	s_wait_loadcnt 0x5
	s_delay_alu instid0(VALU_DEP_2) | instskip(NEXT) | instid1(VALU_DEP_2)
	v_mul_f32_e32 v10, v9, v6
	v_fma_f32 v11, v7, v9, v4
	v_fma_f32 v9, v7, v9, -v4
	s_delay_alu instid0(VALU_DEP_3) | instskip(SKIP_1) | instid1(VALU_DEP_4)
	v_fma_f32 v3, 0.5, v5, v10
	v_fma_f32 v5, v5, 0.5, -v10
	v_fma_f32 v4, -v8, v6, v11
	s_delay_alu instid0(VALU_DEP_4) | instskip(NEXT) | instid1(VALU_DEP_4)
	v_fma_f32 v6, -v8, v6, v9
	v_fmac_f32_e32 v3, v8, v7
	s_delay_alu instid0(VALU_DEP_4)
	v_fma_f32 v5, -v8, v7, v5
	ds_store_b64 v19, v[3:4]
	ds_store_b64 v0, v[5:6] offset:13608
	ds_load_b64 v[3:4], v41 offset:6480
	ds_load_b64 v[5:6], v0 offset:12960
	s_wait_dscnt 0x0
	v_dual_sub_f32 v7, v3, v5 :: v_dual_add_f32 v8, v4, v6
	v_dual_sub_f32 v4, v4, v6 :: v_dual_add_f32 v5, v3, v5
	s_delay_alu instid0(VALU_DEP_2) | instskip(NEXT) | instid1(VALU_DEP_2)
	v_dual_mul_f32 v6, 0.5, v7 :: v_dual_mul_f32 v7, 0.5, v8
	v_mul_f32_e32 v4, 0.5, v4
	s_wait_loadcnt 0x4
	s_delay_alu instid0(VALU_DEP_2) | instskip(NEXT) | instid1(VALU_DEP_2)
	v_mul_f32_e32 v8, v15, v6
	v_fma_f32 v9, v7, v15, v4
	v_fma_f32 v10, v7, v15, -v4
	s_delay_alu instid0(VALU_DEP_3) | instskip(SKIP_1) | instid1(VALU_DEP_4)
	v_fma_f32 v3, 0.5, v5, v8
	v_fma_f32 v5, v5, 0.5, -v8
	v_fma_f32 v4, -v14, v6, v9
	s_delay_alu instid0(VALU_DEP_4) | instskip(NEXT) | instid1(VALU_DEP_4)
	v_fma_f32 v6, -v14, v6, v10
	v_fmac_f32_e32 v3, v14, v7
	s_delay_alu instid0(VALU_DEP_4)
	v_fma_f32 v5, -v14, v7, v5
	ds_store_b64 v41, v[3:4] offset:6480
	ds_store_b64 v0, v[5:6] offset:12960
	ds_load_b64 v[3:4], v41 offset:7128
	ds_load_b64 v[5:6], v0 offset:12312
	s_wait_dscnt 0x0
	v_dual_sub_f32 v7, v3, v5 :: v_dual_add_f32 v8, v4, v6
	v_dual_sub_f32 v4, v4, v6 :: v_dual_add_f32 v5, v3, v5
	s_delay_alu instid0(VALU_DEP_2) | instskip(NEXT) | instid1(VALU_DEP_2)
	v_dual_mul_f32 v6, 0.5, v7 :: v_dual_mul_f32 v7, 0.5, v8
	v_mul_f32_e32 v4, 0.5, v4
	s_wait_loadcnt 0x3
	s_delay_alu instid0(VALU_DEP_2) | instskip(NEXT) | instid1(VALU_DEP_2)
	v_mul_f32_e32 v8, v17, v6
	v_fma_f32 v9, v7, v17, v4
	v_fma_f32 v10, v7, v17, -v4
	s_delay_alu instid0(VALU_DEP_3) | instskip(SKIP_1) | instid1(VALU_DEP_4)
	v_fma_f32 v3, 0.5, v5, v8
	v_fma_f32 v5, v5, 0.5, -v8
	v_fma_f32 v4, -v16, v6, v9
	s_delay_alu instid0(VALU_DEP_4) | instskip(NEXT) | instid1(VALU_DEP_4)
	v_fma_f32 v6, -v16, v6, v10
	v_fmac_f32_e32 v3, v16, v7
	s_delay_alu instid0(VALU_DEP_4)
	v_fma_f32 v5, -v16, v7, v5
	ds_store_b64 v41, v[3:4] offset:7128
	;; [unrolled: 24-line block ×3, first 2 shown]
	ds_store_b64 v0, v[5:6] offset:11664
	ds_load_b64 v[3:4], v41 offset:8424
	ds_load_b64 v[5:6], v0 offset:11016
	s_wait_dscnt 0x0
	v_dual_sub_f32 v7, v3, v5 :: v_dual_add_f32 v8, v4, v6
	v_dual_sub_f32 v4, v4, v6 :: v_dual_add_f32 v5, v3, v5
	s_delay_alu instid0(VALU_DEP_2) | instskip(NEXT) | instid1(VALU_DEP_2)
	v_dual_mul_f32 v6, 0.5, v7 :: v_dual_mul_f32 v7, 0.5, v8
	v_mul_f32_e32 v4, 0.5, v4
	s_wait_loadcnt 0x1
	s_delay_alu instid0(VALU_DEP_2) | instskip(NEXT) | instid1(VALU_DEP_2)
	v_mul_f32_e32 v8, v35, v6
	v_fma_f32 v9, v7, v35, v4
	v_fma_f32 v10, v7, v35, -v4
	s_delay_alu instid0(VALU_DEP_3) | instskip(NEXT) | instid1(VALU_DEP_3)
	v_fma_f32 v3, 0.5, v5, v8
	v_fma_f32 v4, -v34, v6, v9
	s_delay_alu instid0(VALU_DEP_3) | instskip(NEXT) | instid1(VALU_DEP_3)
	v_fma_f32 v6, -v34, v6, v10
	v_fmac_f32_e32 v3, v34, v7
	v_fma_f32 v5, v5, 0.5, -v8
	s_delay_alu instid0(VALU_DEP_1)
	v_fma_f32 v5, -v34, v7, v5
	ds_store_b64 v41, v[3:4] offset:8424
	ds_store_b64 v0, v[5:6] offset:11016
	ds_load_b64 v[3:4], v41 offset:9072
	ds_load_b64 v[5:6], v0 offset:10368
	s_wait_dscnt 0x0
	v_add_f32_e32 v8, v4, v6
	v_dual_sub_f32 v4, v4, v6 :: v_dual_sub_f32 v7, v3, v5
	s_delay_alu instid0(VALU_DEP_1) | instskip(NEXT) | instid1(VALU_DEP_2)
	v_mul_f32_e32 v4, 0.5, v4
	v_dual_mul_f32 v6, 0.5, v7 :: v_dual_mul_f32 v7, 0.5, v8
	v_add_f32_e32 v3, v3, v5
	s_wait_loadcnt 0x0
	s_delay_alu instid0(VALU_DEP_2) | instskip(NEXT) | instid1(VALU_DEP_3)
	v_mul_f32_e32 v5, v2, v6
	v_fma_f32 v8, v7, v2, v4
	v_fma_f32 v4, v7, v2, -v4
	s_delay_alu instid0(VALU_DEP_3) | instskip(NEXT) | instid1(VALU_DEP_1)
	v_fma_f32 v2, 0.5, v3, v5
	v_fmac_f32_e32 v2, v1, v7
	v_fma_f32 v9, v3, 0.5, -v5
	v_fma_f32 v3, -v1, v6, v8
	v_fma_f32 v5, -v1, v6, v4
	s_delay_alu instid0(VALU_DEP_3)
	v_fma_f32 v4, -v1, v7, v9
	ds_store_b64 v41, v[2:3] offset:9072
	ds_store_b64 v0, v[4:5] offset:10368
	global_wb scope:SCOPE_SE
	s_wait_dscnt 0x0
	s_barrier_signal -1
	s_barrier_wait -1
	global_inv scope:SCOPE_SE
	s_and_saveexec_b32 s0, vcc_lo
	s_cbranch_execz .LBB0_20
; %bb.18:
	v_mul_lo_u32 v2, s3, v30
	v_mul_lo_u32 v3, s2, v31
	v_mad_co_u64_u32 v[0:1], null, s2, v30, 0
	v_dual_mov_b32 v25, v29 :: v_dual_add_nc_u32 v28, 0x51, v24
	v_lshlrev_b64_e32 v[10:11], 3, v[26:27]
	v_lshl_add_u32 v20, v24, 3, 0
	s_delay_alu instid0(VALU_DEP_3)
	v_lshlrev_b64_e32 v[12:13], 3, v[24:25]
	v_add3_u32 v1, v1, v3, v2
	v_lshlrev_b64_e32 v[14:15], 3, v[28:29]
	ds_load_2addr_b64 v[2:5], v20 offset1:81
	v_add_nc_u32_e32 v28, 0xa2, v24
	ds_load_2addr_b64 v[6:9], v20 offset0:162 offset1:243
	v_lshlrev_b64_e32 v[0:1], 3, v[0:1]
	v_add_nc_u32_e32 v21, 0x800, v20
	v_lshlrev_b64_e32 v[16:17], 3, v[28:29]
	v_add_nc_u32_e32 v28, 0xf3, v24
	s_delay_alu instid0(VALU_DEP_4) | instskip(SKIP_2) | instid1(VALU_DEP_2)
	v_add_co_u32 v0, vcc_lo, s6, v0
	s_wait_alu 0xfffd
	v_add_co_ci_u32_e32 v1, vcc_lo, s7, v1, vcc_lo
	v_add_co_u32 v0, vcc_lo, v0, v10
	s_wait_alu 0xfffd
	s_delay_alu instid0(VALU_DEP_2) | instskip(NEXT) | instid1(VALU_DEP_2)
	v_add_co_ci_u32_e32 v1, vcc_lo, v1, v11, vcc_lo
	v_add_co_u32 v10, vcc_lo, v0, v12
	s_wait_alu 0xfffd
	s_delay_alu instid0(VALU_DEP_2)
	v_add_co_ci_u32_e32 v11, vcc_lo, v1, v13, vcc_lo
	v_add_co_u32 v12, vcc_lo, v0, v14
	s_wait_alu 0xfffd
	v_add_co_ci_u32_e32 v13, vcc_lo, v1, v15, vcc_lo
	v_lshlrev_b64_e32 v[14:15], 3, v[28:29]
	v_add_co_u32 v16, vcc_lo, v0, v16
	v_add_nc_u32_e32 v28, 0x144, v24
	s_wait_alu 0xfffd
	v_add_co_ci_u32_e32 v17, vcc_lo, v1, v17, vcc_lo
	s_delay_alu instid0(VALU_DEP_4)
	v_add_co_u32 v14, vcc_lo, v0, v14
	s_wait_alu 0xfffd
	v_add_co_ci_u32_e32 v15, vcc_lo, v1, v15, vcc_lo
	v_lshlrev_b64_e32 v[18:19], 3, v[28:29]
	v_add_nc_u32_e32 v28, 0x195, v24
	s_wait_dscnt 0x1
	s_clause 0x1
	global_store_b64 v[10:11], v[2:3], off
	global_store_b64 v[12:13], v[4:5], off
	s_wait_dscnt 0x0
	s_clause 0x1
	global_store_b64 v[16:17], v[6:7], off
	global_store_b64 v[14:15], v[8:9], off
	v_add_nc_u32_e32 v6, 0xc00, v20
	ds_load_2addr_b64 v[2:5], v21 offset0:68 offset1:149
	v_add_nc_u32_e32 v21, 0x1000, v20
	v_lshlrev_b64_e32 v[10:11], 3, v[28:29]
	v_add_nc_u32_e32 v28, 0x1e6, v24
	ds_load_2addr_b64 v[6:9], v6 offset0:102 offset1:183
	v_add_co_u32 v12, vcc_lo, v0, v18
	s_wait_alu 0xfffd
	v_add_co_ci_u32_e32 v13, vcc_lo, v1, v19, vcc_lo
	v_lshlrev_b64_e32 v[14:15], 3, v[28:29]
	v_add_nc_u32_e32 v28, 0x237, v24
	v_add_co_u32 v10, vcc_lo, v0, v10
	s_wait_alu 0xfffd
	v_add_co_ci_u32_e32 v11, vcc_lo, v1, v11, vcc_lo
	s_delay_alu instid0(VALU_DEP_3) | instskip(SKIP_4) | instid1(VALU_DEP_4)
	v_lshlrev_b64_e32 v[16:17], 3, v[28:29]
	v_add_co_u32 v14, vcc_lo, v0, v14
	v_add_nc_u32_e32 v28, 0x288, v24
	s_wait_alu 0xfffd
	v_add_co_ci_u32_e32 v15, vcc_lo, v1, v15, vcc_lo
	v_add_co_u32 v16, vcc_lo, v0, v16
	s_wait_alu 0xfffd
	v_add_co_ci_u32_e32 v17, vcc_lo, v1, v17, vcc_lo
	v_lshlrev_b64_e32 v[18:19], 3, v[28:29]
	v_add_nc_u32_e32 v28, 0x2d9, v24
	s_wait_dscnt 0x1
	s_clause 0x1
	global_store_b64 v[12:13], v[2:3], off
	global_store_b64 v[10:11], v[4:5], off
	s_wait_dscnt 0x0
	s_clause 0x1
	global_store_b64 v[14:15], v[6:7], off
	global_store_b64 v[16:17], v[8:9], off
	v_add_nc_u32_e32 v6, 0x1800, v20
	ds_load_2addr_b64 v[2:5], v21 offset0:136 offset1:217
	v_add_nc_u32_e32 v21, 0x1c00, v20
	v_lshlrev_b64_e32 v[10:11], 3, v[28:29]
	v_add_nc_u32_e32 v28, 0x32a, v24
	ds_load_2addr_b64 v[6:9], v6 offset0:42 offset1:123
	v_add_co_u32 v12, vcc_lo, v0, v18
	s_wait_alu 0xfffd
	v_add_co_ci_u32_e32 v13, vcc_lo, v1, v19, vcc_lo
	v_lshlrev_b64_e32 v[14:15], 3, v[28:29]
	v_add_nc_u32_e32 v28, 0x37b, v24
	v_add_co_u32 v10, vcc_lo, v0, v10
	s_wait_alu 0xfffd
	v_add_co_ci_u32_e32 v11, vcc_lo, v1, v11, vcc_lo
	s_delay_alu instid0(VALU_DEP_3) | instskip(SKIP_4) | instid1(VALU_DEP_4)
	v_lshlrev_b64_e32 v[16:17], 3, v[28:29]
	v_add_co_u32 v14, vcc_lo, v0, v14
	v_add_nc_u32_e32 v28, 0x3cc, v24
	s_wait_alu 0xfffd
	v_add_co_ci_u32_e32 v15, vcc_lo, v1, v15, vcc_lo
	;; [unrolled: 33-line block ×4, first 2 shown]
	v_add_co_u32 v16, vcc_lo, v0, v16
	s_wait_alu 0xfffd
	v_add_co_ci_u32_e32 v17, vcc_lo, v1, v17, vcc_lo
	v_lshlrev_b64_e32 v[18:19], 3, v[28:29]
	v_add_nc_u32_e32 v28, 0x6a5, v24
	s_wait_dscnt 0x1
	s_clause 0x1
	global_store_b64 v[12:13], v[2:3], off
	global_store_b64 v[10:11], v[4:5], off
	s_wait_dscnt 0x0
	s_clause 0x1
	global_store_b64 v[14:15], v[6:7], off
	global_store_b64 v[16:17], v[8:9], off
	v_add_nc_u32_e32 v6, 0x3400, v20
	ds_load_2addr_b64 v[2:5], v21 offset0:84 offset1:165
	v_add_nc_u32_e32 v21, 0x3800, v20
	v_lshlrev_b64_e32 v[10:11], 3, v[28:29]
	v_add_nc_u32_e32 v28, 0x6f6, v24
	ds_load_2addr_b64 v[6:9], v6 offset0:118 offset1:199
	v_add_co_u32 v12, vcc_lo, v0, v18
	s_wait_alu 0xfffd
	v_add_co_ci_u32_e32 v13, vcc_lo, v1, v19, vcc_lo
	v_lshlrev_b64_e32 v[14:15], 3, v[28:29]
	v_add_nc_u32_e32 v28, 0x747, v24
	v_add_co_u32 v10, vcc_lo, v0, v10
	s_wait_alu 0xfffd
	v_add_co_ci_u32_e32 v11, vcc_lo, v1, v11, vcc_lo
	s_delay_alu instid0(VALU_DEP_3) | instskip(SKIP_4) | instid1(VALU_DEP_3)
	v_lshlrev_b64_e32 v[16:17], 3, v[28:29]
	v_add_nc_u32_e32 v28, 0x798, v24
	v_add_co_u32 v14, vcc_lo, v0, v14
	s_wait_alu 0xfffd
	v_add_co_ci_u32_e32 v15, vcc_lo, v1, v15, vcc_lo
	v_lshlrev_b64_e32 v[18:19], 3, v[28:29]
	v_add_nc_u32_e32 v28, 0x7e9, v24
	v_add_co_u32 v16, vcc_lo, v0, v16
	s_wait_alu 0xfffd
	v_add_co_ci_u32_e32 v17, vcc_lo, v1, v17, vcc_lo
	s_wait_dscnt 0x1
	s_clause 0x1
	global_store_b64 v[12:13], v[2:3], off
	global_store_b64 v[10:11], v[4:5], off
	s_wait_dscnt 0x0
	s_clause 0x1
	global_store_b64 v[14:15], v[6:7], off
	global_store_b64 v[16:17], v[8:9], off
	v_lshlrev_b64_e32 v[6:7], 3, v[28:29]
	v_add_nc_u32_e32 v28, 0x83a, v24
	v_add_co_u32 v14, vcc_lo, v0, v18
	s_wait_alu 0xfffd
	v_add_co_ci_u32_e32 v15, vcc_lo, v1, v19, vcc_lo
	s_delay_alu instid0(VALU_DEP_3) | instskip(SKIP_4) | instid1(VALU_DEP_4)
	v_lshlrev_b64_e32 v[10:11], 3, v[28:29]
	v_add_nc_u32_e32 v28, 0x88b, v24
	v_add_nc_u32_e32 v8, 0x4000, v20
	v_add_co_u32 v16, vcc_lo, v0, v6
	v_add_nc_u32_e32 v12, 0x4400, v20
	v_lshlrev_b64_e32 v[18:19], 3, v[28:29]
	v_add_nc_u32_e32 v28, 0x8dc, v24
	ds_load_2addr_b64 v[2:5], v21 offset0:152 offset1:233
	s_wait_alu 0xfffd
	v_add_co_ci_u32_e32 v17, vcc_lo, v1, v7, vcc_lo
	ds_load_2addr_b64 v[6:9], v8 offset0:58 offset1:139
	v_lshlrev_b64_e32 v[22:23], 3, v[28:29]
	v_add_nc_u32_e32 v28, 0x92d, v24
	v_add_co_u32 v20, vcc_lo, v0, v10
	s_wait_alu 0xfffd
	v_add_co_ci_u32_e32 v21, vcc_lo, v1, v11, vcc_lo
	ds_load_2addr_b64 v[10:13], v12 offset0:92 offset1:173
	v_add_co_u32 v18, vcc_lo, v0, v18
	v_lshlrev_b64_e32 v[25:26], 3, v[28:29]
	s_wait_alu 0xfffd
	v_add_co_ci_u32_e32 v19, vcc_lo, v1, v19, vcc_lo
	v_add_co_u32 v22, vcc_lo, v0, v22
	s_wait_alu 0xfffd
	v_add_co_ci_u32_e32 v23, vcc_lo, v1, v23, vcc_lo
	v_add_co_u32 v25, vcc_lo, v0, v25
	s_wait_alu 0xfffd
	v_add_co_ci_u32_e32 v26, vcc_lo, v1, v26, vcc_lo
	v_cmp_eq_u32_e32 vcc_lo, 0x50, v24
	s_wait_dscnt 0x2
	s_clause 0x1
	global_store_b64 v[14:15], v[2:3], off
	global_store_b64 v[16:17], v[4:5], off
	s_wait_dscnt 0x1
	s_clause 0x1
	global_store_b64 v[20:21], v[6:7], off
	global_store_b64 v[18:19], v[8:9], off
	;; [unrolled: 4-line block ×3, first 2 shown]
	s_and_b32 exec_lo, exec_lo, vcc_lo
	s_cbranch_execz .LBB0_20
; %bb.19:
	v_mov_b32_e32 v2, 0
	ds_load_b64 v[2:3], v2 offset:19440
	s_wait_dscnt 0x0
	global_store_b64 v[0:1], v[2:3], off offset:19440
.LBB0_20:
	s_nop 0
	s_sendmsg sendmsg(MSG_DEALLOC_VGPRS)
	s_endpgm
	.section	.rodata,"a",@progbits
	.p2align	6, 0x0
	.amdhsa_kernel fft_rtc_back_len2430_factors_10_3_3_3_3_3_wgs_81_tpt_81_halfLds_sp_op_CI_CI_unitstride_sbrr_R2C_dirReg
		.amdhsa_group_segment_fixed_size 0
		.amdhsa_private_segment_fixed_size 0
		.amdhsa_kernarg_size 104
		.amdhsa_user_sgpr_count 2
		.amdhsa_user_sgpr_dispatch_ptr 0
		.amdhsa_user_sgpr_queue_ptr 0
		.amdhsa_user_sgpr_kernarg_segment_ptr 1
		.amdhsa_user_sgpr_dispatch_id 0
		.amdhsa_user_sgpr_private_segment_size 0
		.amdhsa_wavefront_size32 1
		.amdhsa_uses_dynamic_stack 0
		.amdhsa_enable_private_segment 0
		.amdhsa_system_sgpr_workgroup_id_x 1
		.amdhsa_system_sgpr_workgroup_id_y 0
		.amdhsa_system_sgpr_workgroup_id_z 0
		.amdhsa_system_sgpr_workgroup_info 0
		.amdhsa_system_vgpr_workitem_id 0
		.amdhsa_next_free_vgpr 153
		.amdhsa_next_free_sgpr 39
		.amdhsa_reserve_vcc 1
		.amdhsa_float_round_mode_32 0
		.amdhsa_float_round_mode_16_64 0
		.amdhsa_float_denorm_mode_32 3
		.amdhsa_float_denorm_mode_16_64 3
		.amdhsa_fp16_overflow 0
		.amdhsa_workgroup_processor_mode 1
		.amdhsa_memory_ordered 1
		.amdhsa_forward_progress 0
		.amdhsa_round_robin_scheduling 0
		.amdhsa_exception_fp_ieee_invalid_op 0
		.amdhsa_exception_fp_denorm_src 0
		.amdhsa_exception_fp_ieee_div_zero 0
		.amdhsa_exception_fp_ieee_overflow 0
		.amdhsa_exception_fp_ieee_underflow 0
		.amdhsa_exception_fp_ieee_inexact 0
		.amdhsa_exception_int_div_zero 0
	.end_amdhsa_kernel
	.text
.Lfunc_end0:
	.size	fft_rtc_back_len2430_factors_10_3_3_3_3_3_wgs_81_tpt_81_halfLds_sp_op_CI_CI_unitstride_sbrr_R2C_dirReg, .Lfunc_end0-fft_rtc_back_len2430_factors_10_3_3_3_3_3_wgs_81_tpt_81_halfLds_sp_op_CI_CI_unitstride_sbrr_R2C_dirReg
                                        ; -- End function
	.section	.AMDGPU.csdata,"",@progbits
; Kernel info:
; codeLenInByte = 22356
; NumSgprs: 41
; NumVgprs: 153
; ScratchSize: 0
; MemoryBound: 0
; FloatMode: 240
; IeeeMode: 1
; LDSByteSize: 0 bytes/workgroup (compile time only)
; SGPRBlocks: 5
; VGPRBlocks: 19
; NumSGPRsForWavesPerEU: 41
; NumVGPRsForWavesPerEU: 153
; Occupancy: 9
; WaveLimiterHint : 1
; COMPUTE_PGM_RSRC2:SCRATCH_EN: 0
; COMPUTE_PGM_RSRC2:USER_SGPR: 2
; COMPUTE_PGM_RSRC2:TRAP_HANDLER: 0
; COMPUTE_PGM_RSRC2:TGID_X_EN: 1
; COMPUTE_PGM_RSRC2:TGID_Y_EN: 0
; COMPUTE_PGM_RSRC2:TGID_Z_EN: 0
; COMPUTE_PGM_RSRC2:TIDIG_COMP_CNT: 0
	.text
	.p2alignl 7, 3214868480
	.fill 96, 4, 3214868480
	.type	__hip_cuid_d829805bd86e5a81,@object ; @__hip_cuid_d829805bd86e5a81
	.section	.bss,"aw",@nobits
	.globl	__hip_cuid_d829805bd86e5a81
__hip_cuid_d829805bd86e5a81:
	.byte	0                               ; 0x0
	.size	__hip_cuid_d829805bd86e5a81, 1

	.ident	"AMD clang version 19.0.0git (https://github.com/RadeonOpenCompute/llvm-project roc-6.4.0 25133 c7fe45cf4b819c5991fe208aaa96edf142730f1d)"
	.section	".note.GNU-stack","",@progbits
	.addrsig
	.addrsig_sym __hip_cuid_d829805bd86e5a81
	.amdgpu_metadata
---
amdhsa.kernels:
  - .args:
      - .actual_access:  read_only
        .address_space:  global
        .offset:         0
        .size:           8
        .value_kind:     global_buffer
      - .offset:         8
        .size:           8
        .value_kind:     by_value
      - .actual_access:  read_only
        .address_space:  global
        .offset:         16
        .size:           8
        .value_kind:     global_buffer
      - .actual_access:  read_only
        .address_space:  global
        .offset:         24
        .size:           8
        .value_kind:     global_buffer
      - .actual_access:  read_only
        .address_space:  global
        .offset:         32
        .size:           8
        .value_kind:     global_buffer
      - .offset:         40
        .size:           8
        .value_kind:     by_value
      - .actual_access:  read_only
        .address_space:  global
        .offset:         48
        .size:           8
        .value_kind:     global_buffer
      - .actual_access:  read_only
        .address_space:  global
        .offset:         56
        .size:           8
        .value_kind:     global_buffer
      - .offset:         64
        .size:           4
        .value_kind:     by_value
      - .actual_access:  read_only
        .address_space:  global
        .offset:         72
        .size:           8
        .value_kind:     global_buffer
      - .actual_access:  read_only
        .address_space:  global
        .offset:         80
        .size:           8
        .value_kind:     global_buffer
      - .actual_access:  read_only
        .address_space:  global
        .offset:         88
        .size:           8
        .value_kind:     global_buffer
      - .actual_access:  write_only
        .address_space:  global
        .offset:         96
        .size:           8
        .value_kind:     global_buffer
    .group_segment_fixed_size: 0
    .kernarg_segment_align: 8
    .kernarg_segment_size: 104
    .language:       OpenCL C
    .language_version:
      - 2
      - 0
    .max_flat_workgroup_size: 81
    .name:           fft_rtc_back_len2430_factors_10_3_3_3_3_3_wgs_81_tpt_81_halfLds_sp_op_CI_CI_unitstride_sbrr_R2C_dirReg
    .private_segment_fixed_size: 0
    .sgpr_count:     41
    .sgpr_spill_count: 0
    .symbol:         fft_rtc_back_len2430_factors_10_3_3_3_3_3_wgs_81_tpt_81_halfLds_sp_op_CI_CI_unitstride_sbrr_R2C_dirReg.kd
    .uniform_work_group_size: 1
    .uses_dynamic_stack: false
    .vgpr_count:     153
    .vgpr_spill_count: 0
    .wavefront_size: 32
    .workgroup_processor_mode: 1
amdhsa.target:   amdgcn-amd-amdhsa--gfx1201
amdhsa.version:
  - 1
  - 2
...

	.end_amdgpu_metadata
